;; amdgpu-corpus repo=ROCm/rocFFT kind=compiled arch=gfx950 opt=O3
	.text
	.amdgcn_target "amdgcn-amd-amdhsa--gfx950"
	.amdhsa_code_object_version 6
	.protected	fft_rtc_fwd_len1575_factors_3_3_5_7_5_wgs_63_tpt_63_halfLds_sp_ip_CI_sbrr_dirReg ; -- Begin function fft_rtc_fwd_len1575_factors_3_3_5_7_5_wgs_63_tpt_63_halfLds_sp_ip_CI_sbrr_dirReg
	.globl	fft_rtc_fwd_len1575_factors_3_3_5_7_5_wgs_63_tpt_63_halfLds_sp_ip_CI_sbrr_dirReg
	.p2align	8
	.type	fft_rtc_fwd_len1575_factors_3_3_5_7_5_wgs_63_tpt_63_halfLds_sp_ip_CI_sbrr_dirReg,@function
fft_rtc_fwd_len1575_factors_3_3_5_7_5_wgs_63_tpt_63_halfLds_sp_ip_CI_sbrr_dirReg: ; @fft_rtc_fwd_len1575_factors_3_3_5_7_5_wgs_63_tpt_63_halfLds_sp_ip_CI_sbrr_dirReg
; %bb.0:
	s_load_dwordx2 s[12:13], s[0:1], 0x18
	s_load_dwordx4 s[4:7], s[0:1], 0x0
	s_load_dwordx2 s[10:11], s[0:1], 0x50
	v_mul_u32_u24_e32 v1, 0x411, v0
	v_add_u32_sdwa v6, s2, v1 dst_sel:DWORD dst_unused:UNUSED_PAD src0_sel:DWORD src1_sel:WORD_1
	s_waitcnt lgkmcnt(0)
	s_load_dwordx2 s[8:9], s[12:13], 0x0
	v_mov_b32_e32 v4, 0
	v_cmp_lt_u64_e64 s[2:3], s[6:7], 2
	v_mov_b32_e32 v7, v4
	s_and_b64 vcc, exec, s[2:3]
	v_mov_b64_e32 v[2:3], 0
	s_cbranch_vccnz .LBB0_8
; %bb.1:
	s_load_dwordx2 s[2:3], s[0:1], 0x10
	s_add_u32 s14, s12, 8
	s_addc_u32 s15, s13, 0
	s_mov_b64 s[16:17], 1
	v_mov_b64_e32 v[2:3], 0
	s_waitcnt lgkmcnt(0)
	s_add_u32 s18, s2, 8
	s_addc_u32 s19, s3, 0
.LBB0_2:                                ; =>This Inner Loop Header: Depth=1
	s_load_dwordx2 s[20:21], s[18:19], 0x0
                                        ; implicit-def: $vgpr8_vgpr9
	s_waitcnt lgkmcnt(0)
	v_or_b32_e32 v5, s21, v7
	v_cmp_ne_u64_e32 vcc, 0, v[4:5]
	s_and_saveexec_b64 s[2:3], vcc
	s_xor_b64 s[22:23], exec, s[2:3]
	s_cbranch_execz .LBB0_4
; %bb.3:                                ;   in Loop: Header=BB0_2 Depth=1
	v_cvt_f32_u32_e32 v1, s20
	v_cvt_f32_u32_e32 v5, s21
	s_sub_u32 s2, 0, s20
	s_subb_u32 s3, 0, s21
	v_fmac_f32_e32 v1, 0x4f800000, v5
	v_rcp_f32_e32 v1, v1
	s_nop 0
	v_mul_f32_e32 v1, 0x5f7ffffc, v1
	v_mul_f32_e32 v5, 0x2f800000, v1
	v_trunc_f32_e32 v5, v5
	v_fmac_f32_e32 v1, 0xcf800000, v5
	v_cvt_u32_f32_e32 v5, v5
	v_cvt_u32_f32_e32 v1, v1
	v_mul_lo_u32 v8, s2, v5
	v_mul_hi_u32 v10, s2, v1
	v_mul_lo_u32 v9, s3, v1
	v_add_u32_e32 v10, v10, v8
	v_mul_lo_u32 v12, s2, v1
	v_add_u32_e32 v13, v10, v9
	v_mul_hi_u32 v8, v1, v12
	v_mul_hi_u32 v11, v1, v13
	v_mul_lo_u32 v10, v1, v13
	v_mov_b32_e32 v9, v4
	v_lshl_add_u64 v[8:9], v[8:9], 0, v[10:11]
	v_mul_hi_u32 v11, v5, v12
	v_mul_lo_u32 v12, v5, v12
	v_add_co_u32_e32 v8, vcc, v8, v12
	v_mul_hi_u32 v10, v5, v13
	s_nop 0
	v_addc_co_u32_e32 v8, vcc, v9, v11, vcc
	v_mov_b32_e32 v9, v4
	s_nop 0
	v_addc_co_u32_e32 v11, vcc, 0, v10, vcc
	v_mul_lo_u32 v10, v5, v13
	v_lshl_add_u64 v[8:9], v[8:9], 0, v[10:11]
	v_add_co_u32_e32 v1, vcc, v1, v8
	v_mul_lo_u32 v10, s2, v1
	s_nop 0
	v_addc_co_u32_e32 v5, vcc, v5, v9, vcc
	v_mul_lo_u32 v8, s2, v5
	v_mul_hi_u32 v9, s2, v1
	v_add_u32_e32 v8, v9, v8
	v_mul_lo_u32 v9, s3, v1
	v_add_u32_e32 v12, v8, v9
	v_mul_hi_u32 v14, v5, v10
	v_mul_lo_u32 v15, v5, v10
	v_mul_hi_u32 v9, v1, v12
	v_mul_lo_u32 v8, v1, v12
	v_mul_hi_u32 v10, v1, v10
	v_mov_b32_e32 v11, v4
	v_lshl_add_u64 v[8:9], v[10:11], 0, v[8:9]
	v_add_co_u32_e32 v8, vcc, v8, v15
	v_mul_hi_u32 v13, v5, v12
	s_nop 0
	v_addc_co_u32_e32 v8, vcc, v9, v14, vcc
	v_mul_lo_u32 v10, v5, v12
	s_nop 0
	v_addc_co_u32_e32 v11, vcc, 0, v13, vcc
	v_mov_b32_e32 v9, v4
	v_lshl_add_u64 v[8:9], v[8:9], 0, v[10:11]
	v_add_co_u32_e32 v1, vcc, v1, v8
	v_mul_hi_u32 v10, v6, v1
	s_nop 0
	v_addc_co_u32_e32 v5, vcc, v5, v9, vcc
	v_mad_u64_u32 v[8:9], s[2:3], v6, v5, 0
	v_mov_b32_e32 v11, v4
	v_lshl_add_u64 v[8:9], v[10:11], 0, v[8:9]
	v_mad_u64_u32 v[12:13], s[2:3], v7, v1, 0
	v_add_co_u32_e32 v1, vcc, v8, v12
	v_mad_u64_u32 v[10:11], s[2:3], v7, v5, 0
	s_nop 0
	v_addc_co_u32_e32 v8, vcc, v9, v13, vcc
	v_mov_b32_e32 v9, v4
	s_nop 0
	v_addc_co_u32_e32 v11, vcc, 0, v11, vcc
	v_lshl_add_u64 v[8:9], v[8:9], 0, v[10:11]
	v_mul_lo_u32 v1, s21, v8
	v_mul_lo_u32 v5, s20, v9
	v_mad_u64_u32 v[10:11], s[2:3], s20, v8, 0
	v_add3_u32 v1, v11, v5, v1
	v_sub_u32_e32 v5, v7, v1
	v_mov_b32_e32 v11, s21
	v_sub_co_u32_e32 v14, vcc, v6, v10
	v_lshl_add_u64 v[12:13], v[8:9], 0, 1
	s_nop 0
	v_subb_co_u32_e64 v5, s[2:3], v5, v11, vcc
	v_subrev_co_u32_e64 v10, s[2:3], s20, v14
	v_subb_co_u32_e32 v1, vcc, v7, v1, vcc
	s_nop 0
	v_subbrev_co_u32_e64 v5, s[2:3], 0, v5, s[2:3]
	v_cmp_le_u32_e64 s[2:3], s21, v5
	v_cmp_le_u32_e32 vcc, s21, v1
	s_nop 0
	v_cndmask_b32_e64 v11, 0, -1, s[2:3]
	v_cmp_le_u32_e64 s[2:3], s20, v10
	s_nop 1
	v_cndmask_b32_e64 v10, 0, -1, s[2:3]
	v_cmp_eq_u32_e64 s[2:3], s21, v5
	s_nop 1
	v_cndmask_b32_e64 v5, v11, v10, s[2:3]
	v_lshl_add_u64 v[10:11], v[8:9], 0, 2
	v_cmp_ne_u32_e64 s[2:3], 0, v5
	s_nop 1
	v_cndmask_b32_e64 v5, v13, v11, s[2:3]
	v_cndmask_b32_e64 v11, 0, -1, vcc
	v_cmp_le_u32_e32 vcc, s20, v14
	s_nop 1
	v_cndmask_b32_e64 v13, 0, -1, vcc
	v_cmp_eq_u32_e32 vcc, s21, v1
	s_nop 1
	v_cndmask_b32_e32 v1, v11, v13, vcc
	v_cmp_ne_u32_e32 vcc, 0, v1
	v_cndmask_b32_e64 v1, v12, v10, s[2:3]
	s_nop 0
	v_cndmask_b32_e32 v9, v9, v5, vcc
	v_cndmask_b32_e32 v8, v8, v1, vcc
.LBB0_4:                                ;   in Loop: Header=BB0_2 Depth=1
	s_andn2_saveexec_b64 s[2:3], s[22:23]
	s_cbranch_execz .LBB0_6
; %bb.5:                                ;   in Loop: Header=BB0_2 Depth=1
	v_cvt_f32_u32_e32 v1, s20
	s_sub_i32 s22, 0, s20
	v_rcp_iflag_f32_e32 v1, v1
	s_nop 0
	v_mul_f32_e32 v1, 0x4f7ffffe, v1
	v_cvt_u32_f32_e32 v1, v1
	v_mul_lo_u32 v5, s22, v1
	v_mul_hi_u32 v5, v1, v5
	v_add_u32_e32 v1, v1, v5
	v_mul_hi_u32 v1, v6, v1
	v_mul_lo_u32 v5, v1, s20
	v_sub_u32_e32 v5, v6, v5
	v_add_u32_e32 v8, 1, v1
	v_subrev_u32_e32 v9, s20, v5
	v_cmp_le_u32_e32 vcc, s20, v5
	s_nop 1
	v_cndmask_b32_e32 v5, v5, v9, vcc
	v_cndmask_b32_e32 v1, v1, v8, vcc
	v_add_u32_e32 v8, 1, v1
	v_cmp_le_u32_e32 vcc, s20, v5
	v_mov_b32_e32 v9, v4
	s_nop 0
	v_cndmask_b32_e32 v8, v1, v8, vcc
.LBB0_6:                                ;   in Loop: Header=BB0_2 Depth=1
	s_or_b64 exec, exec, s[2:3]
	v_mad_u64_u32 v[10:11], s[2:3], v8, s20, 0
	s_load_dwordx2 s[2:3], s[14:15], 0x0
	v_mul_lo_u32 v1, v9, s20
	v_mul_lo_u32 v5, v8, s21
	v_add3_u32 v1, v11, v5, v1
	v_sub_co_u32_e32 v5, vcc, v6, v10
	s_add_u32 s16, s16, 1
	s_nop 0
	v_subb_co_u32_e32 v1, vcc, v7, v1, vcc
	s_addc_u32 s17, s17, 0
	s_waitcnt lgkmcnt(0)
	v_mul_lo_u32 v1, s2, v1
	v_mul_lo_u32 v6, s3, v5
	v_mad_u64_u32 v[2:3], s[2:3], s2, v5, v[2:3]
	s_add_u32 s14, s14, 8
	v_add3_u32 v3, v6, v3, v1
	s_addc_u32 s15, s15, 0
	v_mov_b64_e32 v[6:7], s[6:7]
	s_add_u32 s18, s18, 8
	v_cmp_ge_u64_e32 vcc, s[16:17], v[6:7]
	s_addc_u32 s19, s19, 0
	s_cbranch_vccnz .LBB0_9
; %bb.7:                                ;   in Loop: Header=BB0_2 Depth=1
	v_mov_b64_e32 v[6:7], v[8:9]
	s_branch .LBB0_2
.LBB0_8:
	v_mov_b64_e32 v[8:9], v[6:7]
.LBB0_9:
	s_lshl_b64 s[2:3], s[6:7], 3
	s_add_u32 s2, s12, s2
	s_addc_u32 s3, s13, s3
	s_load_dwordx2 s[6:7], s[2:3], 0x0
	s_load_dwordx2 s[12:13], s[0:1], 0x20
	s_mov_b32 s2, 0x4104105
                                        ; implicit-def: $vgpr10_vgpr11
                                        ; implicit-def: $vgpr107
                                        ; implicit-def: $vgpr105
                                        ; implicit-def: $vgpr106
	s_waitcnt lgkmcnt(0)
	v_mul_lo_u32 v1, s6, v9
	v_mul_lo_u32 v4, s7, v8
	v_mad_u64_u32 v[2:3], s[0:1], s6, v8, v[2:3]
	v_add3_u32 v3, v4, v3, v1
	v_mul_hi_u32 v1, v0, s2
	v_mul_u32_u24_e32 v1, 63, v1
	v_sub_u32_e32 v62, v0, v1
	v_cmp_gt_u64_e32 vcc, s[12:13], v[8:9]
	v_cmp_le_u64_e64 s[0:1], s[12:13], v[8:9]
	v_add_u32_e32 v104, 63, v62
                                        ; implicit-def: $vgpr0_vgpr1
	s_and_saveexec_b64 s[2:3], s[0:1]
	s_xor_b64 s[0:1], exec, s[2:3]
; %bb.10:
	v_add_u32_e32 v107, 63, v62
	v_add_u32_e32 v105, 0x7e, v62
	;; [unrolled: 1-line block ×7, first 2 shown]
; %bb.11:
	s_or_saveexec_b64 s[2:3], s[0:1]
	v_lshl_add_u64 v[8:9], v[2:3], 3, s[10:11]
                                        ; implicit-def: $vgpr44
                                        ; implicit-def: $vgpr38
                                        ; implicit-def: $vgpr40
                                        ; implicit-def: $vgpr63
                                        ; implicit-def: $vgpr30
                                        ; implicit-def: $vgpr65
                                        ; implicit-def: $vgpr32
                                        ; implicit-def: $vgpr26
                                        ; implicit-def: $vgpr77
                                        ; implicit-def: $vgpr12
                                        ; implicit-def: $vgpr24
                                        ; implicit-def: $vgpr73
                                        ; implicit-def: $vgpr75
                                        ; implicit-def: $vgpr5
                                        ; implicit-def: $vgpr56
                                        ; implicit-def: $vgpr48
                                        ; implicit-def: $vgpr52
                                        ; implicit-def: $vgpr14
                                        ; implicit-def: $vgpr16
                                        ; implicit-def: $vgpr82
                                        ; implicit-def: $vgpr18
                                        ; implicit-def: $vgpr28
                                        ; implicit-def: $vgpr20
                                        ; implicit-def: $vgpr80
                                        ; implicit-def: $vgpr66
                                        ; implicit-def: $vgpr61
                                        ; implicit-def: $vgpr34
                                        ; implicit-def: $vgpr76
                                        ; implicit-def: $vgpr42
                                        ; implicit-def: $vgpr72
                                        ; implicit-def: $vgpr36
                                        ; implicit-def: $vgpr46
                                        ; implicit-def: $vgpr64
                                        ; implicit-def: $vgpr69
                                        ; implicit-def: $vgpr23
                                        ; implicit-def: $vgpr50
                                        ; implicit-def: $vgpr54
                                        ; implicit-def: $vgpr70
                                        ; implicit-def: $vgpr58
	s_xor_b64 exec, exec, s[2:3]
	s_cbranch_execz .LBB0_15
; %bb.12:
	v_mad_u64_u32 v[0:1], s[0:1], s8, v62, 0
	v_mov_b32_e32 v2, v1
	v_mad_u64_u32 v[2:3], s[0:1], s9, v62, v[2:3]
	v_add_u32_e32 v5, 0x20d, v62
	v_mov_b32_e32 v1, v2
	v_mad_u64_u32 v[2:3], s[0:1], s8, v5, 0
	v_mov_b32_e32 v4, v3
	v_mad_u64_u32 v[4:5], s[0:1], s9, v5, v[4:5]
	v_add_u32_e32 v7, 0x41a, v62
	v_mov_b32_e32 v3, v4
	v_mad_u64_u32 v[4:5], s[0:1], s8, v7, 0
	v_mov_b32_e32 v6, v5
	v_mad_u64_u32 v[6:7], s[0:1], s9, v7, v[6:7]
	v_mov_b32_e32 v5, v6
	v_lshl_add_u64 v[6:7], v[4:5], 3, v[8:9]
	v_mad_u64_u32 v[4:5], s[0:1], s8, v104, 0
	v_mov_b32_e32 v10, v5
	v_mad_u64_u32 v[10:11], s[0:1], s9, v104, v[10:11]
	v_lshl_add_u64 v[0:1], v[0:1], 3, v[8:9]
	v_lshl_add_u64 v[2:3], v[2:3], 3, v[8:9]
	v_mov_b32_e32 v5, v10
	v_lshl_add_u64 v[10:11], v[4:5], 3, v[8:9]
	global_load_dwordx2 v[14:15], v[0:1], off
	global_load_dwordx2 v[16:17], v[2:3], off
	;; [unrolled: 1-line block ×4, first 2 shown]
	v_add_u32_e32 v3, 0x24c, v62
	v_mad_u64_u32 v[0:1], s[0:1], s8, v3, 0
	v_mov_b32_e32 v2, v1
	v_mad_u64_u32 v[2:3], s[0:1], s9, v3, v[2:3]
	v_add_u32_e32 v7, 0x459, v62
	v_mov_b32_e32 v1, v2
	v_mad_u64_u32 v[2:3], s[0:1], s8, v7, 0
	v_mov_b32_e32 v6, v3
	v_mad_u64_u32 v[6:7], s[0:1], s9, v7, v[6:7]
	v_add_u32_e32 v105, 0x7e, v62
	v_mov_b32_e32 v3, v6
	;; [unrolled: 5-line block ×3, first 2 shown]
	v_mad_u64_u32 v[10:11], s[0:1], s8, v13, 0
	v_mov_b32_e32 v12, v11
	v_mad_u64_u32 v[12:13], s[0:1], s9, v13, v[12:13]
	v_lshl_add_u64 v[0:1], v[0:1], 3, v[8:9]
	v_lshl_add_u64 v[2:3], v[2:3], 3, v[8:9]
	v_mov_b32_e32 v11, v12
	v_lshl_add_u64 v[6:7], v[6:7], 3, v[8:9]
	v_lshl_add_u64 v[10:11], v[10:11], 3, v[8:9]
	global_load_dwordx2 v[28:29], v[0:1], off
	global_load_dwordx2 v[24:25], v[2:3], off
	;; [unrolled: 1-line block ×4, first 2 shown]
	v_add_u32_e32 v3, 0x498, v62
	v_mad_u64_u32 v[0:1], s[0:1], s8, v3, 0
	v_mov_b32_e32 v2, v1
	v_mad_u64_u32 v[2:3], s[0:1], s9, v3, v[2:3]
	v_add_u32_e32 v106, 0xbd, v62
	v_mov_b32_e32 v1, v2
	v_mad_u64_u32 v[2:3], s[0:1], s8, v106, 0
	v_mov_b32_e32 v6, v3
	v_mad_u64_u32 v[6:7], s[0:1], s9, v106, v[6:7]
	v_mov_b32_e32 v3, v6
	v_add_u32_e32 v11, 0x2ca, v62
	v_lshl_add_u64 v[6:7], v[2:3], 3, v[8:9]
	v_mad_u64_u32 v[2:3], s[0:1], s8, v11, 0
	v_mov_b32_e32 v10, v3
	v_mad_u64_u32 v[10:11], s[0:1], s9, v11, v[10:11]
	v_mov_b32_e32 v3, v10
	v_add_u32_e32 v23, 0x4d7, v62
	v_lshl_add_u64 v[10:11], v[2:3], 3, v[8:9]
	v_mad_u64_u32 v[2:3], s[0:1], s8, v23, 0
	v_mov_b32_e32 v22, v3
	v_mad_u64_u32 v[22:23], s[0:1], s9, v23, v[22:23]
	v_lshl_add_u64 v[0:1], v[0:1], 3, v[8:9]
	v_mov_b32_e32 v3, v22
	v_lshl_add_u64 v[22:23], v[2:3], 3, v[8:9]
	global_load_dwordx2 v[2:3], v[0:1], off
	global_load_dwordx2 v[66:67], v[6:7], off
	;; [unrolled: 1-line block ×4, first 2 shown]
	v_add_u32_e32 v11, 0xfc, v62
	v_mad_u64_u32 v[0:1], s[0:1], s8, v11, 0
	v_mov_b32_e32 v6, v1
	v_mad_u64_u32 v[6:7], s[0:1], s9, v11, v[6:7]
	v_add_u32_e32 v23, 0x309, v62
	v_mov_b32_e32 v1, v6
	v_mad_u64_u32 v[6:7], s[0:1], s8, v23, 0
	v_mov_b32_e32 v22, v7
	v_mad_u64_u32 v[22:23], s[0:1], s9, v23, v[22:23]
	v_add_u32_e32 v31, 0x516, v62
	v_mov_b32_e32 v7, v22
	v_mad_u64_u32 v[22:23], s[0:1], s8, v31, 0
	v_mov_b32_e32 v30, v23
	v_add_u32_e32 v10, 0x13b, v62
	v_mad_u64_u32 v[30:31], s[0:1], s9, v31, v[30:31]
	v_mov_b32_e32 v23, v30
	v_mad_u64_u32 v[30:31], s[0:1], s8, v10, 0
	v_mov_b32_e32 v32, v31
	v_mad_u64_u32 v[32:33], s[0:1], s9, v10, v[32:33]
	v_lshl_add_u64 v[0:1], v[0:1], 3, v[8:9]
	v_lshl_add_u64 v[6:7], v[6:7], 3, v[8:9]
	v_mov_b32_e32 v31, v32
	v_lshl_add_u64 v[22:23], v[22:23], 3, v[8:9]
	v_lshl_add_u64 v[38:39], v[30:31], 3, v[8:9]
	global_load_dwordx2 v[32:33], v[0:1], off
	global_load_dwordx2 v[30:31], v[6:7], off
	;; [unrolled: 1-line block ×4, first 2 shown]
	v_add_u32_e32 v7, 0x348, v62
	v_mad_u64_u32 v[0:1], s[0:1], s8, v7, 0
	v_mov_b32_e32 v6, v1
	v_mad_u64_u32 v[6:7], s[0:1], s9, v7, v[6:7]
	v_mov_b32_e32 v1, v6
	v_add_u32_e32 v23, 0x555, v62
	v_lshl_add_u64 v[6:7], v[0:1], 3, v[8:9]
	v_mad_u64_u32 v[0:1], s[0:1], s8, v23, 0
	v_mov_b32_e32 v22, v1
	v_mad_u64_u32 v[22:23], s[0:1], s9, v23, v[22:23]
	v_mov_b32_e32 v1, v22
	v_lshl_add_u64 v[44:45], v[0:1], 3, v[8:9]
	v_add_u32_e32 v0, 0x17a, v62
	v_mad_u64_u32 v[22:23], s[0:1], s8, v0, 0
	v_mov_b32_e32 v38, v23
	v_mad_u64_u32 v[38:39], s[0:1], s9, v0, v[38:39]
	v_mov_b32_e32 v23, v38
	v_add_u32_e32 v39, 0x387, v62
	v_lshl_add_u64 v[48:49], v[22:23], 3, v[8:9]
	v_mad_u64_u32 v[22:23], s[0:1], s8, v39, 0
	v_mov_b32_e32 v38, v23
	v_mad_u64_u32 v[38:39], s[0:1], s9, v39, v[38:39]
	v_mov_b32_e32 v23, v38
	v_lshl_add_u64 v[50:51], v[22:23], 3, v[8:9]
	global_load_dwordx2 v[46:47], v[6:7], off
	global_load_dwordx2 v[40:41], v[44:45], off
	;; [unrolled: 1-line block ×4, first 2 shown]
	v_add_u32_e32 v45, 0x594, v62
	v_mad_u64_u32 v[6:7], s[0:1], s8, v45, 0
	v_mov_b32_e32 v44, v7
	v_add_u32_e32 v1, 0x1b9, v62
	v_mad_u64_u32 v[44:45], s[0:1], s9, v45, v[44:45]
	v_mov_b32_e32 v7, v44
	v_mad_u64_u32 v[44:45], s[0:1], s8, v1, 0
	v_mov_b32_e32 v48, v45
	;; [unrolled: 2-line block ×3, first 2 shown]
	v_add_u32_e32 v51, 0x3c6, v62
	v_lshl_add_u64 v[48:49], v[44:45], 3, v[8:9]
	v_mad_u64_u32 v[44:45], s[0:1], s8, v51, 0
	v_mov_b32_e32 v50, v45
	v_mad_u64_u32 v[50:51], s[0:1], s9, v51, v[50:51]
	v_mov_b32_e32 v45, v50
	v_add_u32_e32 v51, 0x5d3, v62
	v_lshl_add_u64 v[52:53], v[44:45], 3, v[8:9]
	v_mad_u64_u32 v[44:45], s[0:1], s8, v51, 0
	v_mov_b32_e32 v50, v45
	v_mad_u64_u32 v[50:51], s[0:1], s9, v51, v[50:51]
	v_lshl_add_u64 v[6:7], v[6:7], 3, v[8:9]
	v_mov_b32_e32 v45, v50
	v_lshl_add_u64 v[56:57], v[44:45], 3, v[8:9]
	global_load_dwordx2 v[44:45], v[6:7], off
	global_load_dwordx2 v[50:51], v[48:49], off
	;; [unrolled: 1-line block ×4, first 2 shown]
	v_cmp_gt_u32_e64 s[0:1], 21, v62
                                        ; implicit-def: $vgpr53
                                        ; implicit-def: $vgpr49
                                        ; implicit-def: $vgpr57
	s_and_saveexec_b64 s[6:7], s[0:1]
	s_cbranch_execz .LBB0_14
; %bb.13:
	v_add_u32_e32 v49, 0x1f8, v62
	v_mad_u64_u32 v[6:7], s[0:1], s8, v49, 0
	v_mov_b32_e32 v48, v7
	v_mad_u64_u32 v[48:49], s[0:1], s9, v49, v[48:49]
	v_add_u32_e32 v53, 0x405, v62
	v_mov_b32_e32 v7, v48
	v_mad_u64_u32 v[48:49], s[0:1], s8, v53, 0
	v_mov_b32_e32 v52, v49
	v_mad_u64_u32 v[52:53], s[0:1], s9, v53, v[52:53]
	v_mov_b32_e32 v49, v52
	v_add_u32_e32 v53, 0x612, v62
	v_lshl_add_u64 v[60:61], v[48:49], 3, v[8:9]
	v_mad_u64_u32 v[48:49], s[0:1], s8, v53, 0
	v_mov_b32_e32 v52, v49
	v_mad_u64_u32 v[52:53], s[0:1], s9, v53, v[52:53]
	v_lshl_add_u64 v[6:7], v[6:7], 3, v[8:9]
	v_mov_b32_e32 v49, v52
	v_lshl_add_u64 v[64:65], v[48:49], 3, v[8:9]
	global_load_dwordx2 v[52:53], v[6:7], off
	global_load_dwordx2 v[56:57], v[60:61], off
	;; [unrolled: 1-line block ×3, first 2 shown]
.LBB0_14:
	s_or_b64 exec, exec, s[6:7]
	v_mov_b32_e32 v107, v104
	s_waitcnt vmcnt(6)
	v_mov_b32_e32 v63, v41
	v_mov_b32_e32 v65, v31
	;; [unrolled: 1-line block ×14, first 2 shown]
	s_waitcnt vmcnt(5)
	v_mov_b32_e32 v69, v22
	s_waitcnt vmcnt(1)
	v_mov_b32_e32 v70, v55
	;; [unrolled: 2-line block ×3, first 2 shown]
.LBB0_15:
	s_or_b64 exec, exec, s[2:3]
	v_pk_add_f32 v[90:91], v[56:57], v[48:49]
	v_mov_b32_e32 v2, v56
	v_mul_f32_e32 v3, 0.5, v90
	v_pk_add_f32 v[6:7], v[52:53], v[2:3] op_sel_hi:[0,1] neg_lo:[0,1] neg_hi:[0,1]
	v_pk_add_f32 v[2:3], v[52:53], v[56:57]
	v_pk_add_f32 v[84:85], v[56:57], v[48:49] neg_lo:[0,1] neg_hi:[0,1]
	v_add_f32_e32 v4, v18, v16
	v_mov_b32_e32 v3, v7
	v_mul_f32_e32 v79, 0x3f5db3d7, v85
	v_mov_b32_e32 v78, v48
	v_mul_f32_e32 v17, 0.5, v4
	v_pk_add_f32 v[2:3], v[78:79], v[2:3]
	v_sub_f32_e32 v4, v82, v83
	v_pk_add_f32 v[78:79], v[14:15], v[16:17]
	v_pk_add_f32 v[86:87], v[14:15], v[16:17] op_sel_hi:[0,1] neg_lo:[0,1] neg_hi:[0,1]
	v_mul_f32_e32 v19, 0x3f5db3d7, v4
	v_mov_b32_e32 v79, v87
	v_fmac_f32_e32 v87, 0xbf5db3d7, v4
	v_add_f32_e32 v4, v24, v28
	v_add_f32_e32 v74, v75, v28
	v_fmac_f32_e32 v75, -0.5, v4
	v_sub_f32_e32 v4, v29, v73
	v_mul_f32_e32 v25, 0x3f5db3d7, v4
	v_pk_add_f32 v[78:79], v[78:79], v[18:19]
	v_mad_u32_u24 v110, v62, 12, 0
	v_fmamk_f32 v4, v4, 0xbf5db3d7, v75
	v_pk_add_f32 v[74:75], v[24:25], v[74:75]
	v_mad_i32_i24 v19, v107, 12, 0
	v_add_f32_e32 v6, v21, v20
	ds_write2_b32 v110, v78, v79 offset1:1
	ds_write_b32 v110, v87 offset:8
	ds_write2_b32 v19, v74, v75 offset1:1
	v_pk_add_f32 v[74:75], v[12:13], v[20:21]
	v_fmac_f32_e32 v12, -0.5, v6
	v_sub_f32_e32 v6, v80, v81
	v_mov_b32_e32 v75, v12
	v_mul_f32_e32 v79, 0x3f5db3d7, v6
	v_mov_b32_e32 v78, v21
	v_pk_add_f32 v[74:75], v[74:75], v[78:79]
	ds_write_b32 v19, v4 offset:8
	v_mad_i32_i24 v25, v105, 12, 0
	v_add_f32_e32 v4, v26, v34
	v_sub_f32_e32 v27, v77, v76
	v_mov_b32_e32 v67, 0x3f5db3d7
	ds_write2_b32 v25, v74, v75 offset1:1
	v_fma_f32 v35, -0.5, v4, v66
	v_fmamk_f32 v4, v6, 0xbf5db3d7, v12
	v_pk_add_f32 v[74:75], v[26:27], v[66:67]
	v_pk_mul_f32 v[66:67], v[26:27], v[66:67]
	ds_write_b32 v25, v4 offset:8
	v_mov_b32_e32 v75, v67
	v_add_f32_e32 v4, v30, v42
	v_pk_add_f32 v[74:75], v[74:75], v[34:35]
	v_mad_i32_i24 v90, v106, 12, 0
	v_mul_f32_e32 v31, 0.5, v4
	v_sub_f32_e32 v4, v35, v67
	ds_write2_b32 v90, v74, v75 offset1:1
	ds_write_b32 v90, v4 offset:8
	v_sub_f32_e32 v4, v65, v72
	v_pk_add_f32 v[66:67], v[32:33], v[30:31]
	v_pk_add_f32 v[74:75], v[32:33], v[30:31] op_sel_hi:[0,1] neg_lo:[0,1] neg_hi:[0,1]
	v_mul_f32_e32 v43, 0x3f5db3d7, v4
	v_mov_b32_e32 v67, v75
	v_fmac_f32_e32 v75, 0xbf5db3d7, v4
	v_add_f32_e32 v4, v40, v46
	v_pk_add_f32 v[66:67], v[66:67], v[42:43]
	v_mad_i32_i24 v108, v11, 12, 0
	v_mul_f32_e32 v47, 0.5, v4
	ds_write2_b32 v108, v66, v67 offset1:1
	ds_write_b32 v108, v75 offset:8
	v_sub_f32_e32 v4, v64, v63
	v_pk_add_f32 v[66:67], v[36:37], v[46:47]
	v_pk_add_f32 v[74:75], v[36:37], v[46:47] op_sel_hi:[0,1] neg_lo:[0,1] neg_hi:[0,1]
	v_mul_f32_e32 v41, 0x3f5db3d7, v4
	v_mov_b32_e32 v67, v75
	v_pk_add_f32 v[66:67], v[66:67], v[40:41]
	v_mad_i32_i24 v109, v10, 12, 0
	v_pk_add_f32 v[98:99], v[44:45], v[38:39]
	v_pk_add_f32 v[96:97], v[38:39], v[44:45] neg_lo:[0,1] neg_hi:[0,1]
	ds_write2_b32 v109, v66, v67 offset1:1
	v_add_f32_e32 v68, v38, v69
	v_fmac_f32_e32 v69, -0.5, v98
	v_mul_f32_e32 v67, 0x3f5db3d7, v97
	v_mov_b32_e32 v66, v44
	v_add_f32_e32 v6, v58, v54
	v_fmac_f32_e32 v75, 0xbf5db3d7, v4
	v_pk_add_f32 v[66:67], v[66:67], v[68:69]
	v_mad_i32_i24 v98, v0, 12, 0
	v_fmamk_f32 v4, v97, 0xbf5db3d7, v69
	v_mul_f32_e32 v55, 0.5, v6
	ds_write_b32 v109, v75 offset:8
	ds_write2_b32 v98, v66, v67 offset1:1
	ds_write_b32 v98, v4 offset:8
	v_sub_f32_e32 v4, v70, v71
	v_pk_add_f32 v[66:67], v[50:51], v[54:55]
	v_pk_add_f32 v[68:69], v[50:51], v[54:55] op_sel_hi:[0,1] neg_lo:[0,1] neg_hi:[0,1]
	v_mul_f32_e32 v59, 0x3f5db3d7, v4
	v_mov_b32_e32 v67, v69
	v_pk_add_f32 v[66:67], v[66:67], v[58:59]
	v_mad_i32_i24 v97, v1, 12, 0
	v_fmac_f32_e32 v69, 0xbf5db3d7, v4
	v_fmac_f32_e32 v7, 0xbf5db3d7, v85
	v_cmp_lt_u32_e64 s[2:3], 20, v62
	v_cmp_gt_u32_e64 s[0:1], 21, v62
	v_mov_b32_e32 v102, v83
	v_mov_b32_e32 v6, v21
	;; [unrolled: 1-line block ×4, first 2 shown]
	ds_write2_b32 v97, v66, v67 offset1:1
	ds_write_b32 v97, v69 offset:8
	s_and_saveexec_b64 s[6:7], s[0:1]
	s_cbranch_execz .LBB0_17
; %bb.16:
	v_add_u32_e32 v4, 0x17a0, v110
	ds_write2_b32 v4, v2, v3 offset1:1
	ds_write_b32 v110, v7 offset:6056
.LBB0_17:
	s_or_b64 exec, exec, s[6:7]
	v_lshlrev_b32_e32 v4, 3, v62
	v_sub_u32_e32 v59, v110, v4
	v_add_u32_e32 v4, 0x800, v59
	v_add_u32_e32 v12, 0x1000, v59
	;; [unrolled: 1-line block ×4, first 2 shown]
	v_lshlrev_b32_e32 v113, 3, v10
	v_lshlrev_b32_e32 v115, 3, v1
	s_waitcnt lgkmcnt(0)
	; wave barrier
	s_waitcnt lgkmcnt(0)
	ds_read2_b32 v[94:95], v4 offset0:13 offset1:76
	ds_read2_b32 v[92:93], v12 offset0:26 offset1:89
	v_lshlrev_b32_e32 v21, 3, v107
	v_lshlrev_b32_e32 v27, 3, v105
	ds_read2_b32 v[88:89], v4 offset0:139 offset1:202
	ds_read2_b32 v[86:87], v12 offset0:152 offset1:215
	v_lshlrev_b32_e32 v111, 3, v106
	v_lshlrev_b32_e32 v112, 3, v11
	ds_read2_b32 v[78:79], v31 offset0:9 offset1:72
	ds_read2_b32 v[74:75], v35 offset0:22 offset1:85
	v_sub_u32_e32 v41, v109, v113
	v_lshlrev_b32_e32 v114, 3, v0
	ds_read2_b32 v[68:69], v31 offset0:135 offset1:198
	ds_read2_b32 v[66:67], v35 offset0:148 offset1:211
	v_sub_u32_e32 v31, v97, v115
	v_sub_u32_e32 v17, v19, v21
	;; [unrolled: 1-line block ×6, first 2 shown]
	ds_read_b32 v85, v59
	ds_read_b32 v55, v17
	;; [unrolled: 1-line block ×8, first 2 shown]
	s_and_saveexec_b64 s[6:7], s[0:1]
	s_cbranch_execz .LBB0_19
; %bb.18:
	ds_read_b32 v2, v59 offset:2016
	ds_read_b32 v3, v59 offset:4116
	ds_read_b32 v7, v59 offset:6216
.LBB0_19:
	s_or_b64 exec, exec, s[6:7]
	v_add_f32_e32 v4, v102, v82
	v_mul_f32_e32 v117, 0.5, v4
	v_mov_b32_e32 v116, v82
	v_sub_f32_e32 v4, v16, v18
	v_pk_add_f32 v[82:83], v[14:15], v[82:83] op_sel:[1,0]
	v_pk_add_f32 v[116:117], v[14:15], v[116:117] op_sel:[1,0] neg_lo:[0,1] neg_hi:[0,1]
	v_mul_f32_e32 v103, 0x3f5db3d7, v4
	v_add_f32_e32 v12, v73, v29
	v_pk_add_f32 v[82:83], v[82:83], v[102:103]
	v_pk_add_f32 v[102:103], v[116:117], v[102:103] neg_lo:[0,1] neg_hi:[0,1]
	v_fmac_f32_e32 v117, 0x3f5db3d7, v4
	v_add_f32_e32 v4, v5, v29
	v_fmac_f32_e32 v5, -0.5, v12
	v_sub_f32_e32 v12, v28, v24
	v_mul_f32_e32 v15, 0x3f5db3d7, v12
	v_mov_b32_e32 v14, v73
	v_pk_add_f32 v[28:29], v[4:5], v[14:15]
	v_pk_add_f32 v[118:119], v[4:5], v[14:15] neg_lo:[0,1] neg_hi:[0,1]
	v_fmac_f32_e32 v5, 0x3f5db3d7, v12
	v_mov_b32_e32 v4, v13
	v_pk_add_f32 v[14:15], v[4:5], v[80:81]
	v_add_f32_e32 v4, v100, v80
	v_fmac_f32_e32 v13, -0.5, v4
	v_sub_f32_e32 v4, v20, v6
	v_mul_f32_e32 v101, 0x3f5db3d7, v4
	v_mov_b32_e32 v12, v14
	v_pk_add_f32 v[80:81], v[14:15], v[100:101]
	v_pk_add_f32 v[100:101], v[12:13], v[100:101] neg_lo:[0,1] neg_hi:[0,1]
	v_fmac_f32_e32 v13, 0x3f5db3d7, v4
	v_add_f32_e32 v4, v77, v76
	v_add_f32_e32 v60, v77, v61
	v_fmac_f32_e32 v61, -0.5, v4
	v_sub_f32_e32 v4, v26, v34
	v_mul_f32_e32 v77, 0x3f5db3d7, v4
	v_pk_add_f32 v[120:121], v[60:61], v[76:77]
	v_pk_add_f32 v[76:77], v[60:61], v[76:77] neg_lo:[0,1] neg_hi:[0,1]
	v_fmac_f32_e32 v61, 0x3f5db3d7, v4
	v_add_f32_e32 v4, v65, v72
	v_mul_f32_e32 v15, 0.5, v4
	v_mov_b32_e32 v14, v65
	v_sub_f32_e32 v4, v30, v42
	v_pk_add_f32 v[16:17], v[32:33], v[14:15] op_sel:[1,0]
	v_pk_add_f32 v[32:33], v[32:33], v[14:15] op_sel:[1,0] neg_lo:[0,1] neg_hi:[0,1]
	v_mul_f32_e32 v73, 0x3f5db3d7, v4
	v_pk_add_f32 v[122:123], v[16:17], v[72:73]
	v_pk_add_f32 v[72:73], v[32:33], v[72:73] neg_lo:[0,1] neg_hi:[0,1]
	v_fmac_f32_e32 v33, 0x3f5db3d7, v4
	v_add_f32_e32 v4, v63, v64
	v_mul_f32_e32 v65, 0.5, v4
	v_sub_f32_e32 v4, v46, v40
	v_pk_add_f32 v[14:15], v[36:37], v[64:65] op_sel:[1,0]
	v_pk_add_f32 v[36:37], v[36:37], v[64:65] op_sel:[1,0] neg_lo:[0,1] neg_hi:[0,1]
	v_mul_f32_e32 v17, 0x3f5db3d7, v4
	v_mov_b32_e32 v16, v63
	v_pk_add_f32 v[64:65], v[14:15], v[16:17]
	v_pk_add_f32 v[124:125], v[36:37], v[16:17] neg_lo:[0,1] neg_hi:[0,1]
	v_fmac_f32_e32 v37, 0x3f5db3d7, v4
	v_add_f32_e32 v22, v39, v23
	v_fmac_f32_e32 v23, -0.5, v99
	v_mul_f32_e32 v15, 0x3f5db3d7, v96
	v_mov_b32_e32 v14, v45
	v_add_f32_e32 v4, v38, v70
	v_pk_add_f32 v[126:127], v[22:23], v[14:15]
	v_pk_add_f32 v[128:129], v[22:23], v[14:15] neg_lo:[0,1] neg_hi:[0,1]
	v_mul_f32_e32 v15, 0.5, v4
	v_mov_b32_e32 v14, v70
	v_sub_f32_e32 v4, v54, v58
	v_pk_add_f32 v[16:17], v[50:51], v[70:71] op_sel:[1,0]
	v_pk_add_f32 v[50:51], v[50:51], v[14:15] op_sel:[1,0] neg_lo:[0,1] neg_hi:[0,1]
	v_mul_f32_e32 v39, 0x3f5db3d7, v4
	v_mul_f32_e32 v14, 0.5, v91
	v_mov_b32_e32 v15, v57
	v_pk_add_f32 v[70:71], v[16:17], v[38:39]
	v_pk_add_f32 v[14:15], v[52:53], v[14:15] op_sel:[1,0] neg_lo:[0,1] neg_hi:[0,1]
	v_pk_add_f32 v[16:17], v[52:53], v[56:57]
	v_mul_f32_e32 v48, 0x3f5db3d7, v84
	v_mov_b32_e32 v15, v17
	v_pk_add_f32 v[16:17], v[48:49], v[14:15]
	v_fmac_f32_e32 v23, 0x3f5db3d7, v96
	v_pk_add_f32 v[38:39], v[50:51], v[38:39] neg_lo:[0,1] neg_hi:[0,1]
	v_fmac_f32_e32 v51, 0x3f5db3d7, v4
	s_waitcnt lgkmcnt(0)
	; wave barrier
	s_waitcnt lgkmcnt(0)
	ds_write2_b32 v110, v82, v103 offset1:1
	ds_write_b32 v110, v117 offset:8
	ds_write2_b32 v19, v28, v119 offset1:1
	ds_write_b32 v19, v5 offset:8
	;; [unrolled: 2-line block ×8, first 2 shown]
	s_and_saveexec_b64 s[6:7], s[2:3]
	s_xor_b64 s[2:3], exec, s[6:7]
	s_or_saveexec_b64 s[2:3], s[2:3]
	v_sub_u32_e32 v18, 0, v21
	v_sub_u32_e32 v15, 0, v27
	;; [unrolled: 1-line block ×7, first 2 shown]
	v_fmac_f32_e32 v14, 0xbf5db3d7, v84
	v_add_u32_e32 v56, 0x1f8, v62
	s_xor_b64 exec, exec, s[2:3]
	s_cbranch_execz .LBB0_21
; %bb.20:
	v_mad_u32_u24 v21, v56, 12, 0
	ds_write2_b32 v21, v17, v14 offset1:1
	ds_write_b32 v21, v16 offset:8
.LBB0_21:
	s_or_b64 exec, exec, s[2:3]
	v_add_u32_e32 v20, 0x800, v59
	v_add_u32_e32 v21, 0x1000, v59
	;; [unrolled: 1-line block ×7, first 2 shown]
	s_waitcnt lgkmcnt(0)
	; wave barrier
	s_waitcnt lgkmcnt(0)
	ds_read2_b32 v[28:29], v20 offset0:13 offset1:76
	ds_read2_b32 v[26:27], v21 offset0:26 offset1:89
	v_add_u32_e32 v57, v19, v18
	ds_read2_b32 v[24:25], v20 offset0:139 offset1:202
	ds_read2_b32 v[22:23], v21 offset0:152 offset1:215
	v_add_u32_e32 v60, v90, v13
	;; [unrolled: 3-line block ×3, first 2 shown]
	v_add_u32_e32 v30, v98, v4
	ds_read2_b32 v[12:13], v12 offset0:135 offset1:198
	ds_read2_b32 v[4:5], v15 offset0:148 offset1:211
	ds_read_b32 v51, v59
	ds_read_b32 v50, v57
	;; [unrolled: 1-line block ×8, first 2 shown]
	s_and_saveexec_b64 s[2:3], s[0:1]
	s_cbranch_execz .LBB0_23
; %bb.22:
	ds_read_b32 v17, v59 offset:2016
	ds_read_b32 v14, v59 offset:4116
	;; [unrolled: 1-line block ×3, first 2 shown]
.LBB0_23:
	s_or_b64 exec, exec, s[2:3]
	s_movk_i32 s2, 0xab
	v_mul_lo_u16_sdwa v15, v62, s2 dst_sel:DWORD dst_unused:UNUSED_PAD src0_sel:BYTE_0 src1_sel:DWORD
	v_lshrrev_b16_e32 v76, 9, v15
	v_mul_lo_u16_e32 v15, 3, v76
	v_sub_u16_e32 v77, v62, v15
	v_mov_b32_e32 v15, 4
	v_lshlrev_b32_sdwa v30, v15, v77 dst_sel:DWORD dst_unused:UNUSED_PAD src0_sel:DWORD src1_sel:BYTE_0
	global_load_dwordx4 v[36:39], v30, s[4:5]
	s_waitcnt vmcnt(0)
	v_mul_f32_e32 v32, v94, v37
	v_mul_f32_e32 v33, v92, v39
	s_waitcnt lgkmcnt(14)
	v_mul_f32_e32 v30, v28, v37
	v_fmac_f32_e32 v32, v28, v36
	v_mul_f32_e32 v28, v26, v39
	v_fmac_f32_e32 v33, v26, v38
	v_mul_lo_u16_sdwa v26, v107, s2 dst_sel:DWORD dst_unused:UNUSED_PAD src0_sel:BYTE_0 src1_sel:DWORD
	v_lshrrev_b16_e32 v80, 9, v26
	v_mul_lo_u16_e32 v26, 3, v80
	v_sub_u16_e32 v81, v107, v26
	v_lshlrev_b32_sdwa v26, v15, v81 dst_sel:DWORD dst_unused:UNUSED_PAD src0_sel:DWORD src1_sel:BYTE_0
	v_fma_f32 v30, v94, v36, -v30
	v_fma_f32 v28, v92, v38, -v28
	global_load_dwordx4 v[36:39], v26, s[4:5]
	s_waitcnt vmcnt(0)
	v_mul_f32_e32 v26, v29, v37
	v_mul_f32_e32 v34, v95, v37
	v_fma_f32 v26, v95, v36, -v26
	v_fmac_f32_e32 v34, v29, v36
	v_mul_f32_e32 v36, v93, v39
	v_mul_f32_e32 v29, v27, v39
	v_fmac_f32_e32 v36, v27, v38
	v_mul_lo_u16_sdwa v27, v105, s2 dst_sel:DWORD dst_unused:UNUSED_PAD src0_sel:BYTE_0 src1_sel:DWORD
	v_lshrrev_b16_e32 v82, 9, v27
	v_mul_lo_u16_e32 v27, 3, v82
	v_sub_u16_e32 v83, v105, v27
	v_lshlrev_b32_sdwa v27, v15, v83 dst_sel:DWORD dst_unused:UNUSED_PAD src0_sel:DWORD src1_sel:BYTE_0
	global_load_dwordx4 v[70:73], v27, s[4:5]
	v_fma_f32 v29, v93, v38, -v29
	s_waitcnt vmcnt(0)
	v_mul_f32_e32 v37, v88, v71
	v_mul_f32_e32 v38, v86, v73
	s_waitcnt lgkmcnt(13)
	v_mul_f32_e32 v27, v24, v71
	v_fmac_f32_e32 v37, v24, v70
	s_waitcnt lgkmcnt(12)
	v_mul_f32_e32 v24, v22, v73
	v_fmac_f32_e32 v38, v22, v72
	v_mul_lo_u16_sdwa v22, v106, s2 dst_sel:DWORD dst_unused:UNUSED_PAD src0_sel:BYTE_0 src1_sel:DWORD
	v_lshrrev_b16_e32 v84, 9, v22
	v_mul_lo_u16_e32 v22, 3, v84
	v_fma_f32 v24, v86, v72, -v24
	v_sub_u16_e32 v86, v106, v22
	v_lshlrev_b32_sdwa v15, v15, v86 dst_sel:DWORD dst_unused:UNUSED_PAD src0_sel:DWORD src1_sel:BYTE_0
	v_fma_f32 v27, v88, v70, -v27
	global_load_dwordx4 v[70:73], v15, s[4:5]
	s_mov_b32 s2, 0xaaab
	s_waitcnt vmcnt(0)
	v_mul_f32_e32 v15, v25, v71
	v_fma_f32 v22, v89, v70, -v15
	v_mul_f32_e32 v39, v89, v71
	v_mul_f32_e32 v15, v23, v73
	v_fmac_f32_e32 v39, v25, v70
	v_fma_f32 v25, v87, v72, -v15
	v_mul_u32_u24_sdwa v15, v11, s2 dst_sel:DWORD dst_unused:UNUSED_PAD src0_sel:WORD_0 src1_sel:DWORD
	v_mul_f32_e32 v40, v87, v73
	v_lshrrev_b32_e32 v87, 17, v15
	v_mul_lo_u16_e32 v15, 3, v87
	v_sub_u16_e32 v88, v11, v15
	v_lshlrev_b32_e32 v15, 4, v88
	v_fmac_f32_e32 v40, v23, v72
	global_load_dwordx4 v[70:73], v15, s[4:5]
	s_waitcnt vmcnt(0) lgkmcnt(11)
	v_mul_f32_e32 v15, v20, v71
	v_fma_f32 v23, v78, v70, -v15
	v_mul_f32_e32 v52, v78, v71
	s_waitcnt lgkmcnt(10)
	v_mul_f32_e32 v15, v18, v73
	v_fmac_f32_e32 v52, v20, v70
	v_fma_f32 v20, v74, v72, -v15
	v_mul_u32_u24_sdwa v15, v10, s2 dst_sel:DWORD dst_unused:UNUSED_PAD src0_sel:WORD_0 src1_sel:DWORD
	v_mul_f32_e32 v53, v74, v73
	v_lshrrev_b32_e32 v74, 17, v15
	v_mul_lo_u16_e32 v15, 3, v74
	v_sub_u16_e32 v78, v10, v15
	v_lshlrev_b32_e32 v10, 4, v78
	v_fmac_f32_e32 v53, v18, v72
	global_load_dwordx4 v[70:73], v10, s[4:5]
	s_waitcnt vmcnt(0)
	v_mul_f32_e32 v18, v79, v71
	v_mul_f32_e32 v15, v19, v73
	;; [unrolled: 1-line block ×3, first 2 shown]
	v_fmac_f32_e32 v18, v21, v70
	v_fma_f32 v21, v75, v72, -v15
	v_mul_u32_u24_sdwa v15, v0, s2 dst_sel:DWORD dst_unused:UNUSED_PAD src0_sel:WORD_0 src1_sel:DWORD
	v_mul_f32_e32 v54, v75, v73
	v_lshrrev_b32_e32 v75, 17, v15
	v_mul_lo_u16_e32 v15, 3, v75
	v_fma_f32 v10, v79, v70, -v10
	v_sub_u16_e32 v79, v0, v15
	v_lshlrev_b32_e32 v0, 4, v79
	v_fmac_f32_e32 v54, v19, v72
	global_load_dwordx4 v[70:73], v0, s[4:5]
	s_waitcnt vmcnt(0)
	v_mul_f32_e32 v19, v68, v71
	v_mul_f32_e32 v65, v66, v73
	s_waitcnt lgkmcnt(9)
	v_mul_f32_e32 v0, v12, v71
	v_fmac_f32_e32 v19, v12, v70
	s_waitcnt lgkmcnt(8)
	v_mul_f32_e32 v12, v4, v73
	v_fmac_f32_e32 v65, v4, v72
	v_mul_u32_u24_sdwa v4, v1, s2 dst_sel:DWORD dst_unused:UNUSED_PAD src0_sel:WORD_0 src1_sel:DWORD
	v_lshrrev_b32_e32 v89, 17, v4
	v_mul_lo_u16_e32 v4, 3, v89
	v_sub_u16_e32 v90, v1, v4
	v_lshlrev_b32_e32 v1, 4, v90
	v_fma_f32 v0, v68, v70, -v0
	v_fma_f32 v64, v66, v72, -v12
	global_load_dwordx4 v[70:73], v1, s[4:5]
	s_waitcnt vmcnt(0)
	v_mul_f32_e32 v66, v67, v73
	v_mul_f32_e32 v4, v69, v71
	;; [unrolled: 1-line block ×3, first 2 shown]
	v_fmac_f32_e32 v66, v5, v72
	v_mul_u32_u24_sdwa v5, v56, s2 dst_sel:DWORD dst_unused:UNUSED_PAD src0_sel:WORD_0 src1_sel:DWORD
	v_mul_f32_e32 v1, v13, v71
	v_fmac_f32_e32 v4, v13, v70
	v_fma_f32 v13, v67, v72, -v12
	v_lshrrev_b32_e32 v72, 17, v5
	v_mul_lo_u16_e32 v5, 3, v72
	v_sub_u16_e32 v73, v56, v5
	v_lshlrev_b32_e32 v5, 4, v73
	v_fma_f32 v1, v69, v70, -v1
	global_load_dwordx4 v[68:71], v5, s[4:5]
	s_waitcnt lgkmcnt(0)
	; wave barrier
	s_waitcnt lgkmcnt(0)
	s_mov_b32 s2, 0x5040100
	v_mul_lo_u16_e32 v72, 9, v72
	v_lshlrev_b32_e32 v73, 2, v73
	s_waitcnt vmcnt(0)
	v_mul_f32_e32 v5, v14, v69
	v_fma_f32 v67, v3, v68, -v5
	v_mul_f32_e32 v3, v3, v69
	v_mul_f32_e32 v5, v16, v71
	v_fmac_f32_e32 v3, v14, v68
	v_fma_f32 v14, v7, v70, -v5
	v_mul_f32_e32 v5, v7, v71
	v_add_f32_e32 v7, v85, v30
	v_fmac_f32_e32 v5, v16, v70
	v_add_f32_e32 v16, v7, v28
	v_add_f32_e32 v7, v30, v28
	v_fmac_f32_e32 v85, -0.5, v7
	v_sub_f32_e32 v7, v32, v33
	v_fmamk_f32 v68, v7, 0x3f5db3d7, v85
	v_fmac_f32_e32 v85, 0xbf5db3d7, v7
	v_add_f32_e32 v7, v55, v26
	v_add_f32_e32 v70, v7, v29
	v_add_f32_e32 v7, v26, v29
	v_fmac_f32_e32 v55, -0.5, v7
	v_sub_f32_e32 v7, v34, v36
	v_fmamk_f32 v71, v7, 0x3f5db3d7, v55
	v_fmac_f32_e32 v55, 0xbf5db3d7, v7
	v_add_f32_e32 v7, v47, v27
	;; [unrolled: 7-line block ×8, first 2 shown]
	v_fma_f32 v12, -0.5, v7, v2
	v_sub_f32_e32 v7, v3, v5
	v_fmamk_f32 v15, v7, 0x3f5db3d7, v12
	v_fmac_f32_e32 v12, 0xbf5db3d7, v7
	v_mul_u32_u24_e32 v7, 36, v76
	v_mov_b32_e32 v76, 2
	v_lshlrev_b32_sdwa v69, v76, v77 dst_sel:DWORD dst_unused:UNUSED_PAD src0_sel:DWORD src1_sel:BYTE_0
	v_add3_u32 v7, 0, v7, v69
	ds_write2_b32 v7, v16, v68 offset1:3
	ds_write_b32 v7, v85 offset:24
	v_mul_u32_u24_e32 v16, 36, v80
	v_lshlrev_b32_sdwa v68, v76, v81 dst_sel:DWORD dst_unused:UNUSED_PAD src0_sel:DWORD src1_sel:BYTE_0
	v_add3_u32 v69, 0, v16, v68
	ds_write2_b32 v69, v70, v71 offset1:3
	ds_write_b32 v69, v55 offset:24
	v_mul_u32_u24_e32 v16, 36, v82
	;; [unrolled: 5-line block ×3, first 2 shown]
	v_lshlrev_b32_sdwa v47, v76, v86 dst_sel:DWORD dst_unused:UNUSED_PAD src0_sel:DWORD src1_sel:BYTE_0
	v_add3_u32 v71, 0, v16, v47
	v_perm_b32 v16, v87, v74, s2
	v_pk_mul_lo_u16 v16, v16, 36 op_sel_hi:[1,0]
	ds_write2_b32 v71, v93, v94 offset1:3
	ds_write_b32 v71, v44 offset:24
	v_lshrrev_b32_e32 v44, 16, v16
	v_lshlrev_b32_e32 v47, 2, v88
	v_add3_u32 v44, 0, v44, v47
	ds_write2_b32 v44, v95, v96 offset1:3
	ds_write_b32 v44, v43 offset:24
	v_and_b32_e32 v16, 0xfffc, v16
	v_lshlrev_b32_e32 v43, 2, v78
	v_add3_u32 v43, 0, v16, v43
	v_perm_b32 v16, v89, v75, s2
	v_pk_mul_lo_u16 v16, v16, 36 op_sel_hi:[1,0]
	ds_write2_b32 v43, v97, v98 offset1:3
	ds_write_b32 v43, v41 offset:24
	v_and_b32_e32 v41, 0xfffc, v16
	v_lshlrev_b32_e32 v47, 2, v79
	v_add3_u32 v74, 0, v41, v47
	ds_write2_b32 v74, v99, v100 offset1:3
	ds_write_b32 v74, v35 offset:24
	v_lshrrev_b32_e32 v16, 16, v16
	v_lshlrev_b32_e32 v35, 2, v90
	v_add3_u32 v75, 0, v16, v35
	ds_write2_b32 v75, v101, v102 offset1:3
	ds_write_b32 v75, v31 offset:24
	s_and_saveexec_b64 s[2:3], s[0:1]
	s_cbranch_execz .LBB0_25
; %bb.24:
	v_add_f32_e32 v2, v2, v67
	v_lshlrev_b32_e32 v16, 2, v72
	v_add_f32_e32 v2, v2, v14
	v_add3_u32 v16, 0, v73, v16
	ds_write2_b32 v16, v2, v15 offset1:3
	ds_write_b32 v16, v12 offset:24
.LBB0_25:
	s_or_b64 exec, exec, s[2:3]
	v_add_f32_e32 v16, v32, v33
	v_add_f32_e32 v2, v51, v32
	v_fmac_f32_e32 v51, -0.5, v16
	v_sub_f32_e32 v16, v30, v28
	v_fmamk_f32 v28, v16, 0xbf5db3d7, v51
	v_fmac_f32_e32 v51, 0x3f5db3d7, v16
	v_add_f32_e32 v16, v50, v34
	v_add_f32_e32 v76, v16, v36
	v_add_f32_e32 v16, v34, v36
	v_fmac_f32_e32 v50, -0.5, v16
	v_sub_f32_e32 v16, v26, v29
	v_fmamk_f32 v29, v16, 0xbf5db3d7, v50
	v_fmac_f32_e32 v50, 0x3f5db3d7, v16
	v_add_f32_e32 v16, v49, v37
	;; [unrolled: 7-line block ×5, first 2 shown]
	v_add_f32_e32 v83, v16, v54
	v_add_f32_e32 v16, v18, v54
	v_fmac_f32_e32 v45, -0.5, v16
	v_sub_f32_e32 v10, v10, v21
	v_add_f32_e32 v16, v19, v65
	v_fmamk_f32 v18, v10, 0xbf5db3d7, v45
	v_fmac_f32_e32 v45, 0x3f5db3d7, v10
	v_add_f32_e32 v10, v42, v19
	v_fmac_f32_e32 v42, -0.5, v16
	v_sub_f32_e32 v0, v0, v64
	v_fmamk_f32 v84, v0, 0xbf5db3d7, v42
	v_fmac_f32_e32 v42, 0x3f5db3d7, v0
	v_add_f32_e32 v0, v6, v4
	v_add_f32_e32 v85, v0, v66
	;; [unrolled: 1-line block ×3, first 2 shown]
	v_fmac_f32_e32 v6, -0.5, v0
	v_sub_f32_e32 v0, v1, v13
	v_fmamk_f32 v4, v0, 0xbf5db3d7, v6
	v_fmac_f32_e32 v6, 0x3f5db3d7, v0
	v_add_f32_e32 v0, v3, v5
	v_fma_f32 v16, -0.5, v0, v17
	v_sub_f32_e32 v0, v67, v14
	v_fmamk_f32 v19, v0, 0xbf5db3d7, v16
	v_fmac_f32_e32 v16, 0x3f5db3d7, v0
	v_add_u32_e32 v13, 0x800, v59
	v_add_u32_e32 v47, 0xc00, v59
	;; [unrolled: 1-line block ×9, first 2 shown]
	v_add_f32_e32 v2, v2, v33
	v_add_f32_e32 v10, v10, v65
	s_waitcnt lgkmcnt(0)
	; wave barrier
	s_waitcnt lgkmcnt(0)
	ds_read_b32 v65, v59
	ds_read2_b32 v[40:41], v13 offset0:118 offset1:181
	ds_read2_b32 v[20:21], v47 offset0:114 offset1:177
	;; [unrolled: 1-line block ×7, first 2 shown]
	ds_read_b32 v67, v58
	ds_read_b32 v66, v60
	ds_read2_b32 v[26:27], v64 offset0:120 offset1:183
	ds_read2_b32 v[24:25], v55 offset0:110 offset1:173
	ds_read_b32 v23, v63
	ds_read_b32 v14, v61
	;; [unrolled: 1-line block ×3, first 2 shown]
	ds_read_b32 v22, v59 offset:6048
	s_waitcnt lgkmcnt(0)
	; wave barrier
	s_waitcnt lgkmcnt(0)
	ds_write2_b32 v7, v2, v28 offset1:3
	ds_write_b32 v7, v51 offset:24
	ds_write2_b32 v69, v76, v29 offset1:3
	ds_write_b32 v69, v50 offset:24
	;; [unrolled: 2-line block ×8, first 2 shown]
	s_and_saveexec_b64 s[2:3], s[0:1]
	s_cbranch_execz .LBB0_27
; %bb.26:
	v_add_f32_e32 v2, v17, v3
	v_lshlrev_b32_e32 v3, 2, v72
	v_add_f32_e32 v2, v2, v5
	v_add3_u32 v3, 0, v73, v3
	ds_write2_b32 v3, v2, v19 offset1:3
	ds_write_b32 v3, v16 offset:24
.LBB0_27:
	s_or_b64 exec, exec, s[2:3]
	v_mov_b32_e32 v2, 57
	v_mul_lo_u16_sdwa v3, v62, v2 dst_sel:DWORD dst_unused:UNUSED_PAD src0_sel:BYTE_0 src1_sel:DWORD
	v_lshrrev_b16_e32 v97, 9, v3
	v_mul_lo_u16_e32 v3, 9, v97
	v_sub_u16_e32 v69, v62, v3
	v_mov_b32_e32 v3, 5
	v_lshlrev_b32_sdwa v4, v3, v69 dst_sel:DWORD dst_unused:UNUSED_PAD src0_sel:DWORD src1_sel:BYTE_0
	s_waitcnt lgkmcnt(0)
	; wave barrier
	s_waitcnt lgkmcnt(0)
	global_load_dwordx4 v[48:51], v4, s[4:5] offset:48
	global_load_dwordx4 v[70:73], v4, s[4:5] offset:64
	v_mul_lo_u16_sdwa v4, v107, v2 dst_sel:DWORD dst_unused:UNUSED_PAD src0_sel:BYTE_0 src1_sel:DWORD
	v_lshrrev_b16_e32 v132, 9, v4
	v_mul_lo_u16_e32 v4, 9, v132
	v_sub_u16_e32 v80, v107, v4
	v_lshlrev_b32_sdwa v4, v3, v80 dst_sel:DWORD dst_unused:UNUSED_PAD src0_sel:DWORD src1_sel:BYTE_0
	global_load_dwordx4 v[74:77], v4, s[4:5] offset:48
	global_load_dwordx4 v[98:101], v4, s[4:5] offset:64
	v_mul_lo_u16_sdwa v4, v105, v2 dst_sel:DWORD dst_unused:UNUSED_PAD src0_sel:BYTE_0 src1_sel:DWORD
	v_mul_lo_u16_sdwa v2, v106, v2 dst_sel:DWORD dst_unused:UNUSED_PAD src0_sel:BYTE_0 src1_sel:DWORD
	v_lshrrev_b16_e32 v133, 9, v4
	v_lshrrev_b16_e32 v134, 9, v2
	v_mul_lo_u16_e32 v4, 9, v133
	v_mul_lo_u16_e32 v2, 9, v134
	v_sub_u16_e32 v82, v105, v4
	v_sub_u16_e32 v135, v106, v2
	v_lshlrev_b32_sdwa v4, v3, v82 dst_sel:DWORD dst_unused:UNUSED_PAD src0_sel:DWORD src1_sel:BYTE_0
	v_lshlrev_b32_sdwa v2, v3, v135 dst_sel:DWORD dst_unused:UNUSED_PAD src0_sel:DWORD src1_sel:BYTE_0
	global_load_dwordx4 v[108:111], v4, s[4:5] offset:48
	global_load_dwordx4 v[112:115], v4, s[4:5] offset:64
	;; [unrolled: 1-line block ×3, first 2 shown]
	ds_read_b32 v17, v59
	ds_read_b32 v46, v63
	ds_read2_b32 v[78:79], v13 offset0:118 offset1:181
	ds_read2_b32 v[28:29], v47 offset0:114 offset1:177
	;; [unrolled: 1-line block ×4, first 2 shown]
	global_load_dwordx4 v[120:123], v2, s[4:5] offset:64
	s_mov_b32 s0, 0xe38f
	v_mul_u32_u24_sdwa v0, v11, s0 dst_sel:DWORD dst_unused:UNUSED_PAD src0_sel:WORD_0 src1_sel:DWORD
	v_lshrrev_b32_e32 v136, 19, v0
	v_mul_lo_u16_e32 v0, 9, v136
	v_sub_u16_e32 v137, v11, v0
	v_lshlrev_b32_e32 v10, 5, v137
	ds_read2_b32 v[126:127], v1 offset0:112 offset1:175
	global_load_dwordx4 v[0:3], v10, s[4:5] offset:64
	global_load_dwordx4 v[4:7], v10, s[4:5] offset:48
	ds_read2_b32 v[128:129], v53 offset0:116 offset1:179
	ds_read2_b32 v[130:131], v54 offset0:106 offset1:169
	ds_read_b32 v18, v60
	ds_read2_b32 v[44:45], v64 offset0:120 offset1:183
	ds_read2_b32 v[42:43], v55 offset0:110 offset1:173
	ds_read_b32 v10, v61
	s_mov_b32 s10, 0x3f737871
	s_mov_b32 s6, 0x3f167918
	;; [unrolled: 1-line block ×3, first 2 shown]
	v_cmp_gt_u32_e64 s[0:1], 36, v62
	s_waitcnt vmcnt(9) lgkmcnt(11)
	v_mul_f32_e32 v81, v46, v49
	s_waitcnt vmcnt(8)
	v_mul_f32_e32 v87, v21, v71
	v_mul_f32_e32 v85, v23, v49
	s_waitcnt lgkmcnt(10)
	v_mul_f32_e32 v49, v78, v51
	v_mul_f32_e32 v86, v40, v51
	s_waitcnt lgkmcnt(9)
	v_mul_f32_e32 v51, v29, v71
	v_fmac_f32_e32 v87, v29, v70
	s_waitcnt vmcnt(7)
	v_mul_f32_e32 v29, v79, v77
	v_fma_f32 v93, v23, v48, -v81
	v_mul_f32_e32 v89, v38, v73
	v_fma_f32 v95, v21, v70, -v51
	v_mov_b32_e32 v21, 2
	v_fma_f32 v88, v41, v76, -v29
	s_waitcnt vmcnt(6) lgkmcnt(6)
	v_mul_f32_e32 v29, v126, v99
	v_mul_f32_e32 v81, v34, v99
	;; [unrolled: 1-line block ×3, first 2 shown]
	v_fmac_f32_e32 v89, v102, v72
	v_lshlrev_b32_sdwa v102, v21, v69 dst_sel:DWORD dst_unused:UNUSED_PAD src0_sel:DWORD src1_sel:BYTE_0
	v_lshlrev_b32_sdwa v138, v21, v80 dst_sel:DWORD dst_unused:UNUSED_PAD src0_sel:DWORD src1_sel:BYTE_0
	v_fma_f32 v91, v34, v98, -v29
	v_fmac_f32_e32 v81, v126, v98
	v_lshlrev_b32_sdwa v98, v21, v82 dst_sel:DWORD dst_unused:UNUSED_PAD src0_sel:DWORD src1_sel:BYTE_0
	v_lshlrev_b32_sdwa v99, v21, v135 dst_sel:DWORD dst_unused:UNUSED_PAD src0_sel:DWORD src1_sel:BYTE_0
	s_waitcnt vmcnt(3) lgkmcnt(2)
	v_mul_f32_e32 v21, v44, v117
	v_fma_f32 v69, v26, v116, -v21
	v_mul_f32_e32 v21, v129, v119
	v_fma_f32 v71, v33, v118, -v21
	s_waitcnt vmcnt(2) lgkmcnt(1)
	v_mul_f32_e32 v21, v42, v121
	v_fmac_f32_e32 v86, v78, v50
	v_fma_f32 v96, v38, v72, -v23
	v_mul_f32_e32 v23, v124, v75
	v_mul_f32_e32 v78, v41, v77
	v_fma_f32 v73, v24, v120, -v21
	v_mul_f32_e32 v21, v131, v123
	v_fma_f32 v94, v40, v50, -v49
	v_fmac_f32_e32 v78, v79, v76
	v_fma_f32 v90, v36, v74, -v23
	v_mul_f32_e32 v23, v103, v101
	v_fma_f32 v76, v31, v122, -v21
	v_add_f32_e32 v21, v65, v93
	v_fma_f32 v92, v39, v100, -v23
	v_mul_f32_e32 v23, v125, v109
	v_add_f32_e32 v21, v21, v94
	v_fma_f32 v77, v37, v108, -v23
	v_mul_f32_e32 v23, v128, v111
	v_add_f32_e32 v21, v21, v95
	v_fmac_f32_e32 v85, v46, v48
	v_mul_f32_e32 v83, v39, v101
	v_fma_f32 v79, v32, v110, -v23
	v_mul_f32_e32 v23, v127, v113
	v_add_f32_e32 v101, v21, v96
	v_add_f32_e32 v21, v94, v95
	v_fmac_f32_e32 v83, v103, v100
	v_mul_f32_e32 v70, v37, v109
	v_fma_f32 v82, v35, v112, -v23
	v_mul_f32_e32 v23, v130, v115
	v_fma_f32 v103, -0.5, v21, v65
	v_sub_f32_e32 v21, v85, v89
	v_fmac_f32_e32 v70, v125, v108
	v_fma_f32 v84, v30, v114, -v23
	v_mul_f32_e32 v49, v26, v117
	v_mul_f32_e32 v50, v24, v121
	v_fmamk_f32 v108, v21, 0x3f737871, v103
	v_sub_f32_e32 v23, v86, v87
	v_sub_f32_e32 v24, v93, v94
	;; [unrolled: 1-line block ×3, first 2 shown]
	v_fmac_f32_e32 v103, 0xbf737871, v21
	v_fmac_f32_e32 v108, 0x3f167918, v23
	v_add_f32_e32 v24, v24, v26
	v_fmac_f32_e32 v103, 0xbf167918, v23
	v_fmac_f32_e32 v108, 0x3e9e377a, v24
	;; [unrolled: 1-line block ×3, first 2 shown]
	v_add_f32_e32 v24, v93, v96
	v_fmac_f32_e32 v65, -0.5, v24
	v_fmamk_f32 v109, v23, 0xbf737871, v65
	v_fmac_f32_e32 v65, 0x3f737871, v23
	v_fmac_f32_e32 v109, 0x3f167918, v21
	;; [unrolled: 1-line block ×3, first 2 shown]
	v_add_f32_e32 v21, v68, v90
	v_add_f32_e32 v21, v21, v88
	v_mul_f32_e32 v80, v36, v75
	v_mul_f32_e32 v72, v32, v111
	v_add_f32_e32 v21, v21, v91
	v_fmac_f32_e32 v80, v124, v74
	v_fmac_f32_e32 v72, v128, v110
	v_sub_f32_e32 v24, v94, v93
	v_sub_f32_e32 v26, v95, v96
	v_add_f32_e32 v110, v21, v92
	v_add_f32_e32 v21, v88, v91
	v_mul_f32_e32 v74, v35, v113
	v_add_f32_e32 v24, v24, v26
	v_fma_f32 v111, -0.5, v21, v68
	v_sub_f32_e32 v21, v80, v83
	v_fmac_f32_e32 v74, v127, v112
	v_fmac_f32_e32 v109, 0x3e9e377a, v24
	;; [unrolled: 1-line block ×3, first 2 shown]
	v_fmamk_f32 v112, v21, 0x3f737871, v111
	v_sub_f32_e32 v23, v78, v81
	v_sub_f32_e32 v24, v90, v88
	;; [unrolled: 1-line block ×3, first 2 shown]
	v_fmac_f32_e32 v111, 0xbf737871, v21
	v_fmac_f32_e32 v112, 0x3f167918, v23
	v_add_f32_e32 v24, v24, v26
	v_fmac_f32_e32 v111, 0xbf167918, v23
	v_fmac_f32_e32 v112, 0x3e9e377a, v24
	;; [unrolled: 1-line block ×3, first 2 shown]
	v_add_f32_e32 v24, v90, v92
	v_fmac_f32_e32 v68, -0.5, v24
	v_fmamk_f32 v113, v23, 0xbf737871, v68
	v_fmac_f32_e32 v68, 0x3f737871, v23
	v_fmac_f32_e32 v113, 0x3f167918, v21
	;; [unrolled: 1-line block ×3, first 2 shown]
	v_add_f32_e32 v21, v67, v77
	v_add_f32_e32 v21, v21, v79
	v_mul_f32_e32 v75, v30, v115
	v_add_f32_e32 v21, v21, v82
	v_fmac_f32_e32 v75, v130, v114
	v_sub_f32_e32 v24, v88, v90
	v_sub_f32_e32 v26, v91, v92
	v_add_f32_e32 v114, v21, v84
	v_add_f32_e32 v21, v79, v82
	;; [unrolled: 1-line block ×3, first 2 shown]
	v_fma_f32 v115, -0.5, v21, v67
	v_sub_f32_e32 v21, v70, v75
	v_fmac_f32_e32 v49, v44, v116
	v_fmac_f32_e32 v113, 0x3e9e377a, v24
	;; [unrolled: 1-line block ×3, first 2 shown]
	v_fmamk_f32 v116, v21, 0x3f737871, v115
	v_sub_f32_e32 v23, v72, v74
	v_sub_f32_e32 v24, v77, v79
	;; [unrolled: 1-line block ×3, first 2 shown]
	v_fmac_f32_e32 v115, 0xbf737871, v21
	v_fmac_f32_e32 v116, 0x3f167918, v23
	v_add_f32_e32 v24, v24, v26
	v_fmac_f32_e32 v115, 0xbf167918, v23
	v_fmac_f32_e32 v116, 0x3e9e377a, v24
	v_fmac_f32_e32 v115, 0x3e9e377a, v24
	v_add_f32_e32 v24, v77, v84
	v_fmac_f32_e32 v67, -0.5, v24
	v_fmamk_f32 v117, v23, 0xbf737871, v67
	v_fmac_f32_e32 v67, 0x3f737871, v23
	v_fmac_f32_e32 v117, 0x3f167918, v21
	;; [unrolled: 1-line block ×3, first 2 shown]
	v_add_f32_e32 v21, v66, v69
	v_add_f32_e32 v21, v21, v71
	v_mul_f32_e32 v44, v33, v119
	v_mul_f32_e32 v51, v31, v123
	v_add_f32_e32 v21, v21, v73
	v_fmac_f32_e32 v44, v129, v118
	v_fmac_f32_e32 v51, v131, v122
	v_sub_f32_e32 v24, v79, v77
	v_sub_f32_e32 v26, v82, v84
	v_add_f32_e32 v118, v21, v76
	v_add_f32_e32 v21, v71, v73
	v_fmac_f32_e32 v50, v42, v120
	v_add_f32_e32 v24, v24, v26
	v_fma_f32 v119, -0.5, v21, v66
	v_sub_f32_e32 v21, v49, v51
	ds_read_b32 v46, v58
	ds_read_b32 v48, v57
	ds_read_b32 v38, v59 offset:6048
	v_fmac_f32_e32 v117, 0x3e9e377a, v24
	v_fmac_f32_e32 v67, 0x3e9e377a, v24
	v_fmamk_f32 v120, v21, 0x3f737871, v119
	v_sub_f32_e32 v23, v44, v50
	v_sub_f32_e32 v24, v69, v71
	;; [unrolled: 1-line block ×3, first 2 shown]
	v_fmac_f32_e32 v119, 0xbf737871, v21
	v_fmac_f32_e32 v120, 0x3f167918, v23
	v_add_f32_e32 v24, v24, v26
	v_fmac_f32_e32 v119, 0xbf167918, v23
	v_fmac_f32_e32 v120, 0x3e9e377a, v24
	;; [unrolled: 1-line block ×3, first 2 shown]
	v_add_f32_e32 v24, v69, v76
	s_waitcnt vmcnt(0)
	v_mov_b32_e32 v31, v6
	v_fmac_f32_e32 v66, -0.5, v24
	v_mov_b32_e32 v35, v6
	v_mov_b32_e32 v36, v45
	;; [unrolled: 1-line block ×5, first 2 shown]
	v_fmamk_f32 v121, v23, 0xbf737871, v66
	v_fmac_f32_e32 v66, 0x3f737871, v23
	v_mov_b32_e32 v32, v27
	v_mov_b32_e32 v33, v20
	;; [unrolled: 1-line block ×3, first 2 shown]
	v_pk_mul_f32 v[36:37], v[36:37], v[6:7]
	v_mov_b32_e32 v5, v7
	v_mov_b32_e32 v23, v25
	;; [unrolled: 1-line block ×5, first 2 shown]
	v_sub_f32_e32 v24, v71, v69
	v_sub_f32_e32 v26, v73, v76
	v_pk_fma_f32 v[40:41], v[32:33], v[34:35], v[36:37] neg_lo:[0,0,1] neg_hi:[0,0,1]
	v_mov_b32_e32 v6, v2
	s_waitcnt lgkmcnt(0)
	v_pk_mul_f32 v[2:3], v[38:39], v[0:1]
	v_pk_mul_f32 v[0:1], v[22:23], v[0:1]
	v_fmac_f32_e32 v121, 0x3f167918, v21
	v_add_f32_e32 v24, v24, v26
	v_fmac_f32_e32 v66, 0xbf167918, v21
	v_mov_b32_e32 v26, v27
	v_mov_b32_e32 v27, v28
	;; [unrolled: 1-line block ×4, first 2 shown]
	v_pk_fma_f32 v[20:21], v[38:39], v[6:7], v[0:1]
	v_add_f32_e32 v0, v14, v40
	v_pk_mul_f32 v[4:5], v[28:29], v[4:5]
	v_pk_fma_f32 v[42:43], v[22:23], v[6:7], v[2:3] neg_lo:[0,0,1] neg_hi:[0,0,1]
	v_add_f32_e32 v0, v0, v41
	v_pk_fma_f32 v[4:5], v[26:27], v[30:31], v[4:5]
	v_add_f32_e32 v0, v0, v43
	v_add_f32_e32 v26, v0, v42
	v_pk_add_f32 v[2:3], v[4:5], v[20:21] neg_lo:[0,1] neg_hi:[0,1]
	v_pk_add_f32 v[0:1], v[40:41], v[42:43]
	v_fmac_f32_e32 v121, 0x3e9e377a, v24
	v_fmac_f32_e32 v66, 0x3e9e377a, v24
	v_pk_fma_f32 v[0:1], -0.5, v[0:1], v[14:15] op_sel_hi:[0,1,0]
	v_pk_mul_f32 v[6:7], v[2:3], s[10:11] op_sel_hi:[1,0]
	v_pk_add_f32 v[22:23], v[40:41], v[40:41] op_sel:[1,0] op_sel_hi:[0,1] neg_lo:[0,1] neg_hi:[0,1]
	v_pk_add_f32 v[24:25], v[42:43], v[42:43] op_sel:[1,0] op_sel_hi:[0,1] neg_lo:[0,1] neg_hi:[0,1]
	v_pk_add_f32 v[22:23], v[22:23], v[24:25]
	v_pk_add_f32 v[24:25], v[0:1], v[6:7] op_sel:[0,1] op_sel_hi:[1,0]
	v_pk_add_f32 v[6:7], v[0:1], v[6:7] op_sel:[0,1] op_sel_hi:[1,0] neg_lo:[0,1] neg_hi:[0,1]
	v_mov_b32_e32 v1, v25
	v_mov_b32_e32 v0, v6
	;; [unrolled: 1-line block ×3, first 2 shown]
	v_pk_fma_f32 v[0:1], v[2:3], s[6:7], v[0:1] op_sel_hi:[1,0,1]
	v_pk_fma_f32 v[2:3], v[2:3], s[6:7], v[24:25] op_sel_hi:[1,0,1] neg_lo:[1,0,0] neg_hi:[1,0,0]
	s_nop 0
	v_pk_fma_f32 v[6:7], v[22:23], s[2:3], v[2:3] op_sel_hi:[1,0,1]
	v_mul_u32_u24_e32 v2, 0xb4, v97
	v_add3_u32 v45, 0, v2, v102
	v_mul_u32_u24_e32 v2, 0xb4, v132
	v_add3_u32 v97, 0, v2, v138
	v_mul_u32_u24_e32 v2, 0xb4, v133
	; wave barrier
	ds_write2_b32 v45, v101, v108 offset1:9
	ds_write2_b32 v45, v109, v65 offset0:18 offset1:27
	ds_write_b32 v45, v103 offset:144
	ds_write2_b32 v97, v110, v112 offset1:9
	ds_write2_b32 v97, v113, v68 offset0:18 offset1:27
	ds_write_b32 v97, v111 offset:144
	v_add3_u32 v68, 0, v2, v98
	v_mul_u32_u24_e32 v2, 0xb4, v134
	v_lshlrev_b32_e32 v100, 2, v137
	v_add3_u32 v98, 0, v2, v99
	v_mul_u32_u24_e32 v2, 0xb4, v136
	v_pk_fma_f32 v[0:1], v[22:23], s[2:3], v[0:1] op_sel_hi:[1,0,1]
	ds_write2_b32 v68, v114, v116 offset1:9
	ds_write2_b32 v68, v117, v67 offset0:18 offset1:27
	ds_write_b32 v68, v115 offset:144
	ds_write2_b32 v98, v118, v120 offset1:9
	ds_write2_b32 v98, v121, v66 offset0:18 offset1:27
	ds_write_b32 v98, v119 offset:144
	v_add3_u32 v66, 0, v2, v100
	ds_write2_b32 v66, v26, v1 offset1:9
	ds_write2_b32 v66, v0, v6 offset0:18 offset1:27
	ds_write_b32 v66, v7 offset:144
	s_waitcnt lgkmcnt(0)
	; wave barrier
	s_waitcnt lgkmcnt(0)
	ds_read2_b32 v[2:3], v59 offset1:225
	ds_read2_b32 v[38:39], v64 offset0:66 offset1:129
	ds_read2_b32 v[28:29], v13 offset0:64 offset1:163
	;; [unrolled: 1-line block ×8, first 2 shown]
	ds_read_b32 v64, v58
	ds_read_b32 v65, v57
	ds_read_b32 v67, v59 offset:5904
	s_and_saveexec_b64 s[12:13], s[0:1]
	s_cbranch_execz .LBB0_29
; %bb.28:
	v_add_u32_e32 v0, 0x600, v59
	ds_read2_b32 v[6:7], v0 offset0:30 offset1:255
	v_add_u32_e32 v0, 0xd80, v59
	ds_read2_b32 v[14:15], v0 offset1:225
	v_add_u32_e32 v0, 0x1480, v59
	ds_read_b32 v1, v60
	ds_read2_b32 v[12:13], v0 offset0:2 offset1:227
	s_waitcnt lgkmcnt(3)
	v_mov_b32_e32 v0, v6
	v_mov_b32_e32 v6, v7
	s_waitcnt lgkmcnt(2)
	v_mov_b32_e32 v7, v14
.LBB0_29:
	s_or_b64 exec, exec, s[12:13]
	v_add_f32_e32 v22, v86, v87
	v_fma_f32 v47, -0.5, v22, v17
	v_sub_f32_e32 v22, v93, v96
	v_fmamk_f32 v52, v22, 0xbf737871, v47
	v_sub_f32_e32 v23, v94, v95
	v_sub_f32_e32 v53, v85, v86
	;; [unrolled: 1-line block ×3, first 2 shown]
	v_fmac_f32_e32 v47, 0x3f737871, v22
	v_fmac_f32_e32 v52, 0xbf167918, v23
	v_add_f32_e32 v53, v53, v54
	v_fmac_f32_e32 v47, 0x3f167918, v23
	v_fmac_f32_e32 v52, 0x3e9e377a, v53
	;; [unrolled: 1-line block ×3, first 2 shown]
	v_add_f32_e32 v53, v85, v89
	v_add_f32_e32 v14, v17, v85
	v_fmac_f32_e32 v17, -0.5, v53
	v_fmamk_f32 v53, v23, 0x3f737871, v17
	v_fmac_f32_e32 v17, 0xbf737871, v23
	v_fmac_f32_e32 v53, 0xbf167918, v22
	;; [unrolled: 1-line block ×3, first 2 shown]
	v_add_f32_e32 v22, v48, v80
	v_sub_f32_e32 v54, v86, v85
	v_sub_f32_e32 v55, v87, v89
	v_add_f32_e32 v22, v22, v78
	v_add_f32_e32 v54, v54, v55
	v_add_f32_e32 v22, v22, v81
	v_fmac_f32_e32 v53, 0x3e9e377a, v54
	v_fmac_f32_e32 v17, 0x3e9e377a, v54
	v_add_f32_e32 v54, v22, v83
	v_add_f32_e32 v22, v78, v81
	v_add_f32_e32 v14, v14, v86
	v_fma_f32 v55, -0.5, v22, v48
	v_sub_f32_e32 v22, v90, v92
	v_add_f32_e32 v14, v14, v87
	v_fmamk_f32 v85, v22, 0xbf737871, v55
	v_sub_f32_e32 v23, v88, v91
	v_sub_f32_e32 v86, v80, v78
	v_sub_f32_e32 v87, v83, v81
	v_fmac_f32_e32 v55, 0x3f737871, v22
	v_fmac_f32_e32 v85, 0xbf167918, v23
	v_add_f32_e32 v86, v86, v87
	v_fmac_f32_e32 v55, 0x3f167918, v23
	v_fmac_f32_e32 v85, 0x3e9e377a, v86
	v_fmac_f32_e32 v55, 0x3e9e377a, v86
	v_add_f32_e32 v86, v80, v83
	v_fmac_f32_e32 v48, -0.5, v86
	v_fmamk_f32 v86, v23, 0x3f737871, v48
	v_fmac_f32_e32 v48, 0xbf737871, v23
	v_fmac_f32_e32 v86, 0xbf167918, v22
	;; [unrolled: 1-line block ×3, first 2 shown]
	v_add_f32_e32 v22, v46, v70
	v_sub_f32_e32 v78, v78, v80
	v_sub_f32_e32 v80, v81, v83
	v_add_f32_e32 v22, v22, v72
	v_add_f32_e32 v78, v78, v80
	;; [unrolled: 1-line block ×3, first 2 shown]
	v_fmac_f32_e32 v86, 0x3e9e377a, v78
	v_fmac_f32_e32 v48, 0x3e9e377a, v78
	v_add_f32_e32 v78, v22, v75
	v_add_f32_e32 v22, v72, v74
	v_fma_f32 v80, -0.5, v22, v46
	v_sub_f32_e32 v22, v77, v84
	v_fmamk_f32 v77, v22, 0xbf737871, v80
	v_sub_f32_e32 v23, v79, v82
	v_sub_f32_e32 v79, v70, v72
	v_sub_f32_e32 v81, v75, v74
	v_fmac_f32_e32 v80, 0x3f737871, v22
	v_fmac_f32_e32 v77, 0xbf167918, v23
	v_add_f32_e32 v79, v79, v81
	v_fmac_f32_e32 v80, 0x3f167918, v23
	v_fmac_f32_e32 v77, 0x3e9e377a, v79
	;; [unrolled: 1-line block ×3, first 2 shown]
	v_add_f32_e32 v79, v70, v75
	v_fmac_f32_e32 v46, -0.5, v79
	v_fmamk_f32 v79, v23, 0x3f737871, v46
	v_fmac_f32_e32 v46, 0xbf737871, v23
	v_fmac_f32_e32 v79, 0xbf167918, v22
	;; [unrolled: 1-line block ×3, first 2 shown]
	v_add_f32_e32 v22, v18, v49
	v_sub_f32_e32 v70, v72, v70
	v_sub_f32_e32 v72, v74, v75
	v_add_f32_e32 v22, v22, v44
	v_add_f32_e32 v70, v70, v72
	;; [unrolled: 1-line block ×3, first 2 shown]
	v_fmac_f32_e32 v79, 0x3e9e377a, v70
	v_fmac_f32_e32 v46, 0x3e9e377a, v70
	v_add_f32_e32 v70, v22, v51
	v_add_f32_e32 v22, v44, v50
	v_fma_f32 v72, -0.5, v22, v18
	v_sub_f32_e32 v22, v69, v76
	v_fmamk_f32 v69, v22, 0xbf737871, v72
	v_sub_f32_e32 v23, v71, v73
	v_sub_f32_e32 v71, v49, v44
	;; [unrolled: 1-line block ×3, first 2 shown]
	v_fmac_f32_e32 v72, 0x3f737871, v22
	v_fmac_f32_e32 v69, 0xbf167918, v23
	v_add_f32_e32 v71, v71, v73
	v_fmac_f32_e32 v72, 0x3f167918, v23
	v_fmac_f32_e32 v69, 0x3e9e377a, v71
	v_fmac_f32_e32 v72, 0x3e9e377a, v71
	v_add_f32_e32 v71, v49, v51
	v_fmac_f32_e32 v18, -0.5, v71
	v_fmamk_f32 v71, v23, 0x3f737871, v18
	v_fmac_f32_e32 v18, 0xbf737871, v23
	v_fmac_f32_e32 v71, 0xbf167918, v22
	;; [unrolled: 1-line block ×3, first 2 shown]
	v_add_f32_e32 v22, v10, v4
	v_sub_f32_e32 v44, v44, v49
	v_sub_f32_e32 v49, v50, v51
	v_add_f32_e32 v22, v22, v5
	v_add_f32_e32 v44, v44, v49
	;; [unrolled: 1-line block ×3, first 2 shown]
	v_fmac_f32_e32 v71, 0x3e9e377a, v44
	v_fmac_f32_e32 v18, 0x3e9e377a, v44
	v_add_f32_e32 v44, v22, v20
	v_pk_add_f32 v[22:23], v[40:41], v[42:43] neg_lo:[0,1] neg_hi:[0,1]
	v_pk_add_f32 v[40:41], v[4:5], v[20:21]
	v_pk_add_f32 v[4:5], v[4:5], v[4:5] op_sel:[0,1] op_sel_hi:[1,0] neg_lo:[0,1] neg_hi:[0,1]
	v_pk_fma_f32 v[40:41], -0.5, v[40:41], v[10:11] op_sel_hi:[0,1,0]
	v_pk_fma_f32 v[42:43], v[22:23], s[10:11], v[40:41] op_sel:[0,0,1] op_sel_hi:[1,0,0] neg_lo:[1,0,0] neg_hi:[1,0,0]
	v_pk_fma_f32 v[40:41], v[22:23], s[10:11], v[40:41] op_sel:[0,0,1] op_sel_hi:[1,0,0]
	v_mov_b32_e32 v50, v42
	v_mov_b32_e32 v51, v41
	v_pk_mul_f32 v[22:23], v[22:23], s[6:7] op_sel_hi:[1,0]
	v_pk_add_f32 v[20:21], v[20:21], v[20:21] op_sel:[0,1] op_sel_hi:[1,0] neg_lo:[0,1] neg_hi:[0,1]
	v_mov_b32_e32 v41, v43
	v_add_f32_e32 v14, v14, v89
	v_pk_add_f32 v[50:51], v[50:51], v[22:23] op_sel:[0,1] op_sel_hi:[1,0] neg_lo:[0,1] neg_hi:[0,1]
	v_pk_add_f32 v[20:21], v[4:5], v[20:21]
	v_pk_add_f32 v[22:23], v[22:23], v[40:41] op_sel:[1,0] op_sel_hi:[0,1]
	v_pk_fma_f32 v[4:5], v[20:21], s[2:3], v[50:51] op_sel_hi:[1,0,1]
	v_pk_fma_f32 v[22:23], v[20:21], s[2:3], v[22:23] op_sel_hi:[1,0,1]
	s_waitcnt lgkmcnt(0)
	; wave barrier
	s_waitcnt lgkmcnt(0)
	ds_write2_b32 v45, v14, v52 offset1:9
	ds_write2_b32 v45, v53, v17 offset0:18 offset1:27
	ds_write_b32 v45, v47 offset:144
	ds_write2_b32 v97, v54, v85 offset1:9
	ds_write2_b32 v97, v86, v48 offset0:18 offset1:27
	ds_write_b32 v97, v55 offset:144
	;; [unrolled: 3-line block ×5, first 2 shown]
	v_add_u32_e32 v10, 0x800, v59
	v_add_u32_e32 v14, 0x1400, v59
	s_waitcnt lgkmcnt(0)
	; wave barrier
	s_waitcnt lgkmcnt(0)
	ds_read2_b32 v[42:43], v10 offset0:64 offset1:163
	v_add_u32_e32 v10, 0xc00, v59
	ds_read2_b32 v[50:51], v14 offset0:70 offset1:133
	v_add_u32_e32 v14, 0x400, v59
	v_add_u32_e32 v17, 0x600, v59
	ds_read2_b32 v[52:53], v10 offset0:132 offset1:195
	v_add_u32_e32 v10, 0x1000, v59
	ds_read2_b32 v[48:49], v14 offset0:32 offset1:95
	v_add_u32_e32 v14, 0xa00, v59
	ds_read2_b32 v[20:21], v59 offset1:225
	ds_read2_b32 v[54:55], v17 offset0:66 offset1:129
	ds_read2_b32 v[40:41], v10 offset0:2 offset1:101
	;; [unrolled: 1-line block ×4, first 2 shown]
	ds_read_b32 v10, v58
	ds_read_b32 v14, v57
	ds_read_b32 v70, v59 offset:5904
	s_and_saveexec_b64 s[2:3], s[0:1]
	s_cbranch_execz .LBB0_31
; %bb.30:
	v_add_u32_e32 v5, 0xd80, v59
	ds_read_b32 v4, v60
	ds_read2_b32 v[18:19], v5 offset1:225
	ds_read2_b32 v[68:69], v17 offset0:30 offset1:255
	v_add_u32_e32 v5, 0x1480, v59
	ds_read2_b32 v[16:17], v5 offset0:2 offset1:227
	s_waitcnt lgkmcnt(2)
	v_mov_b32_e32 v22, v18
	s_waitcnt lgkmcnt(1)
	v_mov_b32_e32 v23, v69
	v_mov_b32_e32 v5, v68
.LBB0_31:
	s_or_b64 exec, exec, s[2:3]
	v_subrev_u32_e32 v18, 45, v62
	v_cmp_gt_u32_e64 s[2:3], 45, v62
	v_mov_b32_e32 v69, 0
	v_mov_b32_e32 v71, 6
	v_cndmask_b32_e64 v66, v18, v62, s[2:3]
	v_mul_i32_i24_e32 v68, 6, v66
	v_lshl_add_u64 v[68:69], v[68:69], 3, s[4:5]
	global_load_dwordx4 v[72:75], v[68:69], off offset:368
	global_load_dwordx4 v[76:79], v[68:69], off offset:352
	;; [unrolled: 1-line block ×3, first 2 shown]
	s_movk_i32 s2, 0x6d
	s_mov_b32 s6, 0x3f5ff5aa
	s_mov_b32 s7, 0x3f3bfb3b
	;; [unrolled: 1-line block ×4, first 2 shown]
	v_lshlrev_b32_e32 v66, 2, v66
	s_waitcnt vmcnt(0) lgkmcnt(7)
	v_mul_f32_e32 v18, v21, v81
	v_fma_f32 v18, v3, v80, -v18
	v_mul_f32_e32 v3, v3, v81
	v_fmac_f32_e32 v3, v21, v80
	s_waitcnt lgkmcnt(6)
	v_mul_f32_e32 v21, v54, v83
	v_fma_f32 v21, v38, v82, -v21
	v_mul_f32_e32 v38, v38, v83
	v_fmac_f32_e32 v38, v54, v82
	v_mul_f32_e32 v54, v43, v77
	v_fma_f32 v54, v29, v76, -v54
	v_mul_f32_e32 v29, v29, v77
	v_fmac_f32_e32 v29, v43, v76
	v_mul_f32_e32 v43, v52, v79
	v_fma_f32 v43, v36, v78, -v43
	v_mul_f32_e32 v36, v36, v79
	v_fmac_f32_e32 v36, v52, v78
	s_waitcnt lgkmcnt(5)
	v_mul_f32_e32 v52, v41, v73
	v_fma_f32 v52, v25, v72, -v52
	v_mul_f32_e32 v25, v25, v73
	v_fmac_f32_e32 v25, v41, v72
	v_mul_f32_e32 v41, v50, v75
	v_fma_f32 v41, v34, v74, -v41
	v_mul_f32_e32 v34, v34, v75
	v_fmac_f32_e32 v34, v50, v74
	v_mul_lo_u16_sdwa v50, v107, s2 dst_sel:DWORD dst_unused:UNUSED_PAD src0_sel:BYTE_0 src1_sel:DWORD
	v_sub_u16_sdwa v68, v107, v50 dst_sel:DWORD dst_unused:UNUSED_PAD src0_sel:DWORD src1_sel:BYTE_1
	v_lshrrev_b16_e32 v68, 1, v68
	v_and_b32_e32 v68, 0x7f, v68
	v_add_u16_sdwa v50, v68, v50 dst_sel:DWORD dst_unused:UNUSED_PAD src0_sel:DWORD src1_sel:BYTE_1
	v_lshrrev_b16_e32 v68, 5, v50
	v_mul_lo_u16_e32 v50, 45, v68
	v_sub_u16_e32 v69, v107, v50
	v_mul_u32_u24_sdwa v50, v69, v71 dst_sel:DWORD dst_unused:UNUSED_PAD src0_sel:BYTE_0 src1_sel:DWORD
	v_lshlrev_b32_e32 v50, 3, v50
	global_load_dwordx4 v[72:75], v50, s[4:5] offset:368
	global_load_dwordx4 v[76:79], v50, s[4:5] offset:352
	;; [unrolled: 1-line block ×3, first 2 shown]
	s_waitcnt vmcnt(0)
	v_mul_f32_e32 v50, v48, v81
	v_fma_f32 v50, v32, v80, -v50
	v_mul_f32_e32 v32, v32, v81
	v_fmac_f32_e32 v32, v48, v80
	v_mul_f32_e32 v48, v55, v83
	v_fma_f32 v48, v39, v82, -v48
	v_mul_f32_e32 v39, v39, v83
	v_fmac_f32_e32 v39, v55, v82
	s_waitcnt lgkmcnt(4)
	v_mul_f32_e32 v55, v46, v77
	v_fma_f32 v55, v30, v76, -v55
	v_mul_f32_e32 v30, v30, v77
	v_fmac_f32_e32 v30, v46, v76
	v_mul_f32_e32 v46, v53, v79
	v_fma_f32 v46, v37, v78, -v46
	v_mul_f32_e32 v37, v37, v79
	v_fmac_f32_e32 v37, v53, v78
	s_waitcnt lgkmcnt(3)
	v_mul_f32_e32 v53, v44, v73
	v_fma_f32 v53, v26, v72, -v53
	v_mul_f32_e32 v26, v26, v73
	v_fmac_f32_e32 v26, v44, v72
	v_mul_f32_e32 v44, v51, v75
	v_fma_f32 v44, v35, v74, -v44
	v_mul_f32_e32 v35, v35, v75
	v_fmac_f32_e32 v35, v51, v74
	v_mul_lo_u16_sdwa v51, v105, s2 dst_sel:DWORD dst_unused:UNUSED_PAD src0_sel:BYTE_0 src1_sel:DWORD
	v_sub_u16_sdwa v72, v105, v51 dst_sel:DWORD dst_unused:UNUSED_PAD src0_sel:DWORD src1_sel:BYTE_1
	v_lshrrev_b16_e32 v72, 1, v72
	v_and_b32_e32 v72, 0x7f, v72
	v_add_u16_sdwa v51, v72, v51 dst_sel:DWORD dst_unused:UNUSED_PAD src0_sel:DWORD src1_sel:BYTE_1
	v_lshrrev_b16_e32 v84, 5, v51
	v_mul_lo_u16_e32 v51, 45, v84
	v_sub_u16_e32 v85, v105, v51
	v_mul_u32_u24_sdwa v51, v85, v71 dst_sel:DWORD dst_unused:UNUSED_PAD src0_sel:BYTE_0 src1_sel:DWORD
	v_lshlrev_b32_e32 v51, 3, v51
	global_load_dwordx4 v[72:75], v51, s[4:5] offset:368
	global_load_dwordx4 v[76:79], v51, s[4:5] offset:352
	;; [unrolled: 1-line block ×3, first 2 shown]
	s_waitcnt vmcnt(0)
	v_mul_f32_e32 v51, v49, v81
	v_fma_f32 v51, v33, v80, -v51
	v_mul_f32_e32 v33, v33, v81
	v_fmac_f32_e32 v33, v49, v80
	v_mul_f32_e32 v49, v42, v83
	v_fma_f32 v49, v28, v82, -v49
	v_mul_f32_e32 v28, v28, v83
	v_fmac_f32_e32 v28, v42, v82
	v_mul_f32_e32 v42, v47, v77
	v_fma_f32 v42, v31, v76, -v42
	v_mul_f32_e32 v31, v31, v77
	v_fmac_f32_e32 v31, v47, v76
	v_mul_f32_e32 v47, v40, v79
	v_fma_f32 v47, v24, v78, -v47
	v_mul_f32_e32 v24, v24, v79
	v_fmac_f32_e32 v24, v40, v78
	v_mul_f32_e32 v40, v45, v73
	v_fma_f32 v40, v27, v72, -v40
	v_mul_f32_e32 v27, v27, v73
	v_fmac_f32_e32 v27, v45, v72
	s_waitcnt lgkmcnt(0)
	v_mul_f32_e32 v45, v70, v75
	v_fma_f32 v45, v67, v74, -v45
	v_mul_f32_e32 v67, v67, v75
	v_fmac_f32_e32 v67, v70, v74
	v_mul_lo_u16_sdwa v70, v106, s2 dst_sel:DWORD dst_unused:UNUSED_PAD src0_sel:BYTE_0 src1_sel:DWORD
	v_sub_u16_sdwa v71, v106, v70 dst_sel:DWORD dst_unused:UNUSED_PAD src0_sel:DWORD src1_sel:BYTE_1
	v_lshrrev_b16_e32 v71, 1, v71
	v_and_b32_e32 v71, 0x7f, v71
	v_add_u16_sdwa v70, v71, v70 dst_sel:DWORD dst_unused:UNUSED_PAD src0_sel:DWORD src1_sel:BYTE_1
	v_lshrrev_b16_e32 v70, 5, v70
	v_mul_lo_u16_e32 v70, 45, v70
	v_sub_u16_e32 v70, v106, v70
	v_and_b32_e32 v86, 0xff, v70
	v_mul_u32_u24_e32 v70, 6, v86
	v_lshlrev_b32_e32 v70, 3, v70
	global_load_dwordx4 v[76:79], v70, s[4:5] offset:368
	global_load_dwordx4 v[80:83], v70, s[4:5] offset:352
	;; [unrolled: 1-line block ×3, first 2 shown]
	v_add_f32_e32 v89, v42, v47
	v_sub_f32_e32 v90, v24, v31
	v_cmp_lt_u32_e64 s[2:3], 44, v62
	s_waitcnt lgkmcnt(0)
	; wave barrier
	s_waitcnt vmcnt(0)
	v_mul_f32_e32 v70, v5, v73
	v_fma_f32 v70, v0, v72, -v70
	v_mul_f32_e32 v71, v0, v73
	v_mul_f32_e32 v0, v23, v75
	v_fmac_f32_e32 v71, v5, v72
	v_fma_f32 v5, v6, v74, -v0
	v_mul_f32_e32 v72, v6, v75
	v_mul_f32_e32 v0, v22, v81
	v_fmac_f32_e32 v72, v23, v74
	;; [unrolled: 4-line block ×3, first 2 shown]
	v_fma_f32 v22, v15, v82, -v0
	v_mul_f32_e32 v0, v16, v77
	v_fma_f32 v74, v12, v76, -v0
	v_mul_f32_e32 v75, v12, v77
	v_mul_f32_e32 v0, v17, v79
	v_fmac_f32_e32 v75, v16, v76
	v_fma_f32 v76, v13, v78, -v0
	v_mul_f32_e32 v77, v13, v79
	v_add_f32_e32 v0, v18, v41
	v_add_f32_e32 v7, v21, v52
	v_mul_f32_e32 v15, v15, v83
	v_fmac_f32_e32 v77, v17, v78
	v_sub_f32_e32 v6, v3, v34
	v_sub_f32_e32 v12, v38, v25
	v_add_f32_e32 v13, v54, v43
	v_sub_f32_e32 v16, v36, v29
	v_add_f32_e32 v17, v7, v0
	v_fmac_f32_e32 v15, v19, v82
	v_sub_f32_e32 v19, v7, v0
	v_sub_f32_e32 v0, v0, v13
	;; [unrolled: 1-line block ×3, first 2 shown]
	v_add_f32_e32 v78, v16, v12
	v_sub_f32_e32 v79, v16, v12
	v_sub_f32_e32 v12, v12, v6
	v_add_f32_e32 v13, v13, v17
	v_sub_f32_e32 v16, v6, v16
	v_add_f32_e32 v6, v78, v6
	v_add_f32_e32 v2, v2, v13
	v_mul_f32_e32 v0, 0x3f4a47b2, v0
	v_mul_f32_e32 v17, 0x3d64c772, v7
	;; [unrolled: 1-line block ×4, first 2 shown]
	v_fmamk_f32 v13, v13, 0xbf955555, v2
	v_fma_f32 v17, v19, s7, -v17
	v_fma_f32 v19, v19, s10, -v0
	v_fmac_f32_e32 v0, 0x3d64c772, v7
	v_fma_f32 v7, v12, s6, -v78
	v_fmac_f32_e32 v78, 0x3eae86e6, v16
	v_fma_f32 v12, v16, s11, -v79
	v_add_f32_e32 v0, v0, v13
	v_add_f32_e32 v16, v17, v13
	;; [unrolled: 1-line block ×3, first 2 shown]
	v_fmac_f32_e32 v78, 0x3ee1c552, v6
	v_fmac_f32_e32 v12, 0x3ee1c552, v6
	;; [unrolled: 1-line block ×3, first 2 shown]
	v_add_f32_e32 v6, v78, v0
	v_add_f32_e32 v17, v12, v13
	v_sub_f32_e32 v12, v13, v12
	v_sub_f32_e32 v0, v0, v78
	v_add_f32_e32 v13, v50, v44
	v_add_f32_e32 v78, v48, v53
	v_sub_f32_e32 v79, v39, v26
	v_add_f32_e32 v80, v55, v46
	v_sub_f32_e32 v81, v37, v30
	;; [unrolled: 2-line block ×4, first 2 shown]
	v_sub_f32_e32 v83, v78, v13
	v_sub_f32_e32 v13, v13, v80
	;; [unrolled: 1-line block ×3, first 2 shown]
	v_add_f32_e32 v87, v81, v79
	v_sub_f32_e32 v88, v81, v79
	v_add_f32_e32 v80, v80, v82
	v_sub_f32_e32 v81, v16, v81
	v_sub_f32_e32 v79, v79, v16
	v_add_f32_e32 v16, v87, v16
	v_add_f32_e32 v82, v65, v80
	v_mul_f32_e32 v13, 0x3f4a47b2, v13
	v_mul_f32_e32 v65, 0x3d64c772, v78
	;; [unrolled: 1-line block ×4, first 2 shown]
	v_fmamk_f32 v80, v80, 0xbf955555, v82
	v_fma_f32 v65, v83, s7, -v65
	v_fma_f32 v83, v83, s10, -v13
	v_fmac_f32_e32 v13, 0x3d64c772, v78
	v_fma_f32 v78, v79, s6, -v87
	v_fmac_f32_e32 v87, 0x3eae86e6, v81
	v_fma_f32 v79, v81, s11, -v88
	v_add_f32_e32 v13, v13, v80
	v_add_f32_e32 v65, v65, v80
	v_fmac_f32_e32 v87, 0x3ee1c552, v16
	v_fmac_f32_e32 v78, 0x3ee1c552, v16
	v_add_f32_e32 v80, v83, v80
	v_fmac_f32_e32 v79, 0x3ee1c552, v16
	v_add_f32_e32 v16, v87, v13
	v_sub_f32_e32 v83, v65, v78
	v_add_f32_e32 v78, v78, v65
	v_sub_f32_e32 v13, v13, v87
	v_add_f32_e32 v65, v51, v45
	v_add_f32_e32 v87, v49, v40
	;; [unrolled: 1-line block ×3, first 2 shown]
	v_sub_f32_e32 v79, v80, v79
	v_sub_f32_e32 v80, v33, v67
	;; [unrolled: 1-line block ×3, first 2 shown]
	v_add_f32_e32 v91, v87, v65
	v_sub_f32_e32 v92, v87, v65
	v_sub_f32_e32 v65, v65, v89
	;; [unrolled: 1-line block ×3, first 2 shown]
	v_add_f32_e32 v93, v90, v88
	v_sub_f32_e32 v94, v90, v88
	v_sub_f32_e32 v88, v88, v80
	v_add_f32_e32 v89, v89, v91
	v_sub_f32_e32 v90, v80, v90
	v_add_f32_e32 v80, v93, v80
	v_add_f32_e32 v64, v64, v89
	v_mul_f32_e32 v65, 0x3f4a47b2, v65
	v_mul_f32_e32 v91, 0x3d64c772, v87
	;; [unrolled: 1-line block ×4, first 2 shown]
	v_fmamk_f32 v89, v89, 0xbf955555, v64
	v_fma_f32 v91, v92, s7, -v91
	v_fma_f32 v92, v92, s10, -v65
	v_fmac_f32_e32 v65, 0x3d64c772, v87
	v_fma_f32 v87, v88, s6, -v93
	v_fmac_f32_e32 v93, 0x3eae86e6, v90
	v_fma_f32 v88, v90, s11, -v94
	v_add_f32_e32 v65, v65, v89
	v_add_f32_e32 v90, v91, v89
	;; [unrolled: 1-line block ×3, first 2 shown]
	v_fmac_f32_e32 v93, 0x3ee1c552, v80
	v_fmac_f32_e32 v88, 0x3ee1c552, v80
	;; [unrolled: 1-line block ×3, first 2 shown]
	v_add_f32_e32 v80, v93, v65
	v_add_f32_e32 v91, v88, v89
	v_sub_f32_e32 v88, v89, v88
	v_sub_f32_e32 v89, v65, v93
	v_mov_b32_e32 v65, 0x4ec
	v_cndmask_b32_e64 v65, 0, v65, s[2:3]
	v_add3_u32 v65, 0, v65, v66
	ds_write2_b32 v65, v2, v6 offset1:45
	ds_write2_b32 v65, v17, v19 offset0:90 offset1:135
	ds_write2_b32 v65, v7, v12 offset0:180 offset1:225
	ds_write_b32 v65, v0 offset:1080
	v_mov_b32_e32 v2, 2
	v_mul_u32_u24_e32 v0, 0x4ec, v68
	v_lshlrev_b32_sdwa v6, v2, v69 dst_sel:DWORD dst_unused:UNUSED_PAD src0_sel:DWORD src1_sel:BYTE_0
	v_add3_u32 v66, 0, v0, v6
	v_mul_u32_u24_e32 v0, 0x4ec, v84
	v_lshlrev_b32_sdwa v2, v2, v85 dst_sel:DWORD dst_unused:UNUSED_PAD src0_sel:DWORD src1_sel:BYTE_0
	v_add3_u32 v68, 0, v0, v2
	v_sub_f32_e32 v92, v90, v87
	v_add_f32_e32 v87, v87, v90
	ds_write2_b32 v66, v82, v16 offset1:45
	ds_write2_b32 v66, v81, v83 offset0:90 offset1:135
	ds_write2_b32 v66, v78, v79 offset0:180 offset1:225
	ds_write_b32 v66, v13 offset:1080
	ds_write2_b32 v68, v64, v80 offset1:45
	ds_write2_b32 v68, v91, v92 offset0:90 offset1:135
	ds_write2_b32 v68, v87, v88 offset0:180 offset1:225
	ds_write_b32 v68, v89 offset:1080
	v_lshl_add_u32 v64, v86, 2, 0
	s_and_saveexec_b64 s[2:3], s[0:1]
	s_cbranch_execz .LBB0_33
; %bb.32:
	v_add_f32_e32 v0, v70, v76
	v_add_f32_e32 v7, v5, v74
	;; [unrolled: 1-line block ×4, first 2 shown]
	v_sub_f32_e32 v17, v15, v73
	v_sub_f32_e32 v69, v72, v75
	v_sub_f32_e32 v6, v0, v2
	v_sub_f32_e32 v12, v2, v7
	v_add_f32_e32 v2, v2, v16
	v_sub_f32_e32 v16, v71, v77
	v_sub_f32_e32 v78, v17, v69
	v_mul_f32_e32 v6, 0x3f4a47b2, v6
	v_mul_f32_e32 v13, 0x3d64c772, v12
	v_add_f32_e32 v1, v1, v2
	v_sub_f32_e32 v19, v16, v17
	v_mul_f32_e32 v78, 0xbf08b237, v78
	v_add_f32_e32 v17, v17, v69
	v_sub_f32_e32 v0, v7, v0
	v_sub_f32_e32 v7, v69, v16
	v_fmamk_f32 v12, v12, 0x3d64c772, v6
	v_fmamk_f32 v2, v2, 0xbf955555, v1
	;; [unrolled: 1-line block ×3, first 2 shown]
	v_add_f32_e32 v17, v17, v16
	v_fma_f32 v6, v0, s10, -v6
	v_mul_f32_e32 v16, 0x3f5ff5aa, v7
	v_fma_f32 v7, v7, s6, -v78
	v_fma_f32 v0, v0, s7, -v13
	v_add_f32_e32 v12, v12, v2
	v_fmac_f32_e32 v79, 0x3ee1c552, v17
	v_fma_f32 v16, v19, s11, -v16
	v_fmac_f32_e32 v7, 0x3ee1c552, v17
	v_add_f32_e32 v0, v0, v2
	v_sub_f32_e32 v80, v12, v79
	v_add_f32_e32 v6, v6, v2
	v_fmac_f32_e32 v16, 0x3ee1c552, v17
	v_add_f32_e32 v2, v7, v0
	v_sub_f32_e32 v0, v0, v7
	v_add_f32_e32 v7, v79, v12
	v_add_u32_e32 v12, 0x1200, v64
	v_sub_f32_e32 v19, v6, v16
	v_add_f32_e32 v6, v16, v6
	ds_write2_b32 v12, v1, v7 offset0:108 offset1:153
	v_add_u32_e32 v1, 0x1400, v64
	ds_write2_b32 v1, v6, v0 offset0:70 offset1:115
	ds_write2_b32 v1, v2, v19 offset0:160 offset1:205
	ds_write_b32 v64, v80 offset:6120
.LBB0_33:
	s_or_b64 exec, exec, s[2:3]
	v_add_f32_e32 v0, v3, v34
	v_add_f32_e32 v2, v38, v25
	v_sub_f32_e32 v1, v18, v41
	v_sub_f32_e32 v3, v21, v52
	v_add_f32_e32 v6, v29, v36
	v_sub_f32_e32 v7, v43, v54
	v_add_f32_e32 v12, v2, v0
	v_sub_f32_e32 v13, v2, v0
	v_sub_f32_e32 v0, v0, v6
	;; [unrolled: 1-line block ×3, first 2 shown]
	v_add_f32_e32 v16, v7, v3
	v_sub_f32_e32 v17, v7, v3
	v_sub_f32_e32 v3, v3, v1
	v_add_f32_e32 v6, v6, v12
	v_sub_f32_e32 v7, v1, v7
	v_add_f32_e32 v1, v16, v1
	v_add_f32_e32 v20, v20, v6
	v_mul_f32_e32 v0, 0x3f4a47b2, v0
	v_mul_f32_e32 v12, 0x3d64c772, v2
	v_mul_f32_e32 v16, 0xbf08b237, v17
	v_mul_f32_e32 v17, 0x3f5ff5aa, v3
	v_fmamk_f32 v6, v6, 0xbf955555, v20
	v_fma_f32 v12, v13, s7, -v12
	v_fma_f32 v13, v13, s10, -v0
	v_fmac_f32_e32 v0, 0x3d64c772, v2
	v_fma_f32 v2, v3, s6, -v16
	v_fmac_f32_e32 v16, 0x3eae86e6, v7
	v_fma_f32 v3, v7, s11, -v17
	v_add_f32_e32 v0, v0, v6
	v_add_f32_e32 v7, v12, v6
	;; [unrolled: 1-line block ×3, first 2 shown]
	v_fmac_f32_e32 v16, 0x3ee1c552, v1
	v_fmac_f32_e32 v3, 0x3ee1c552, v1
	;; [unrolled: 1-line block ×3, first 2 shown]
	v_sub_f32_e32 v1, v0, v16
	v_sub_f32_e32 v21, v6, v3
	v_add_f32_e32 v34, v3, v6
	v_add_f32_e32 v36, v16, v0
	v_add_f32_e32 v0, v32, v35
	v_add_f32_e32 v3, v39, v26
	v_add_f32_e32 v25, v2, v7
	v_sub_f32_e32 v29, v7, v2
	v_sub_f32_e32 v6, v48, v53
	v_add_f32_e32 v7, v30, v37
	v_sub_f32_e32 v12, v46, v55
	v_add_f32_e32 v13, v3, v0
	v_sub_f32_e32 v2, v50, v44
	v_sub_f32_e32 v16, v3, v0
	;; [unrolled: 1-line block ×5, first 2 shown]
	v_add_f32_e32 v7, v7, v13
	v_add_f32_e32 v17, v12, v6
	v_sub_f32_e32 v12, v2, v12
	v_sub_f32_e32 v6, v6, v2
	v_add_f32_e32 v26, v14, v7
	v_mul_f32_e32 v0, 0x3f4a47b2, v0
	v_mul_f32_e32 v13, 0x3d64c772, v3
	;; [unrolled: 1-line block ×3, first 2 shown]
	v_add_f32_e32 v2, v17, v2
	v_mul_f32_e32 v17, 0x3f5ff5aa, v6
	v_fmamk_f32 v7, v7, 0xbf955555, v26
	v_fma_f32 v13, v16, s7, -v13
	v_fma_f32 v16, v16, s10, -v0
	v_fmac_f32_e32 v0, 0x3d64c772, v3
	v_fma_f32 v3, v6, s6, -v14
	v_fmac_f32_e32 v14, 0x3eae86e6, v12
	v_fma_f32 v6, v12, s11, -v17
	v_add_f32_e32 v0, v0, v7
	v_add_f32_e32 v12, v13, v7
	v_fmac_f32_e32 v14, 0x3ee1c552, v2
	v_fmac_f32_e32 v3, 0x3ee1c552, v2
	v_add_f32_e32 v7, v16, v7
	v_fmac_f32_e32 v6, 0x3ee1c552, v2
	v_sub_f32_e32 v35, v0, v14
	v_add_f32_e32 v38, v3, v12
	v_sub_f32_e32 v39, v12, v3
	v_add_f32_e32 v48, v14, v0
	v_add_f32_e32 v0, v33, v67
	;; [unrolled: 1-line block ×3, first 2 shown]
	v_sub_f32_e32 v37, v7, v6
	v_add_f32_e32 v41, v6, v7
	v_sub_f32_e32 v6, v49, v40
	v_add_f32_e32 v7, v31, v24
	;; [unrolled: 2-line block ×3, first 2 shown]
	v_sub_f32_e32 v2, v51, v45
	v_sub_f32_e32 v14, v3, v0
	v_sub_f32_e32 v0, v0, v7
	v_sub_f32_e32 v3, v7, v3
	v_sub_f32_e32 v17, v12, v6
	v_add_f32_e32 v7, v7, v13
	v_add_f32_e32 v16, v12, v6
	v_sub_f32_e32 v12, v2, v12
	v_sub_f32_e32 v6, v6, v2
	v_add_f32_e32 v24, v10, v7
	v_mul_f32_e32 v0, 0x3f4a47b2, v0
	v_mul_f32_e32 v10, 0x3d64c772, v3
	;; [unrolled: 1-line block ×3, first 2 shown]
	v_add_f32_e32 v2, v16, v2
	v_fmamk_f32 v7, v7, 0xbf955555, v24
	v_fma_f32 v10, v14, s7, -v10
	v_fma_f32 v14, v14, s10, -v0
	v_fmac_f32_e32 v0, 0x3d64c772, v3
	v_fma_f32 v3, v6, s6, -v13
	v_fmac_f32_e32 v13, 0x3eae86e6, v12
	v_add_f32_e32 v0, v0, v7
	v_fmac_f32_e32 v13, 0x3ee1c552, v2
	v_mul_f32_e32 v16, 0x3f5ff5aa, v6
	v_sub_f32_e32 v27, v0, v13
	v_add_f32_e32 v52, v13, v0
	v_add_u32_e32 v0, 0x800, v59
	v_fma_f32 v6, v12, s11, -v16
	v_add_f32_e32 v10, v10, v7
	v_fmac_f32_e32 v3, 0x3ee1c552, v2
	s_waitcnt lgkmcnt(0)
	; wave barrier
	s_waitcnt lgkmcnt(0)
	ds_read2_b32 v[44:45], v0 offset0:118 offset1:181
	v_add_u32_e32 v0, 0xc00, v59
	v_fmac_f32_e32 v6, 0x3ee1c552, v2
	v_add_f32_e32 v49, v3, v10
	v_sub_f32_e32 v50, v10, v3
	ds_read2_b32 v[2:3], v0 offset0:114 offset1:177
	v_add_u32_e32 v0, 0x1200, v59
	ds_read2_b32 v[42:43], v0 offset0:108 offset1:171
	v_add_u32_e32 v0, 0x400, v59
	;; [unrolled: 2-line block ×5, first 2 shown]
	v_add_f32_e32 v7, v14, v7
	ds_read_b32 v46, v59
	ds_read2_b32 v[16:17], v0 offset0:106 offset1:169
	ds_read_b32 v28, v58
	ds_read_b32 v14, v60
	v_add_u32_e32 v0, 0x600, v59
	ds_read2_b32 v[12:13], v0 offset0:120 offset1:183
	v_add_u32_e32 v0, 0x1000, v59
	v_sub_f32_e32 v47, v7, v6
	v_add_f32_e32 v51, v6, v7
	ds_read2_b32 v[6:7], v0 offset0:110 offset1:173
	ds_read_b32 v54, v63
	ds_read_b32 v0, v61
	;; [unrolled: 1-line block ×3, first 2 shown]
	ds_read_b32 v10, v59 offset:6048
	s_waitcnt lgkmcnt(0)
	; wave barrier
	s_waitcnt lgkmcnt(0)
	ds_write2_b32 v65, v20, v1 offset1:45
	ds_write2_b32 v65, v21, v25 offset0:90 offset1:135
	ds_write2_b32 v65, v29, v34 offset0:180 offset1:225
	ds_write_b32 v65, v36 offset:1080
	ds_write2_b32 v66, v26, v35 offset1:45
	ds_write2_b32 v66, v37, v38 offset0:90 offset1:135
	ds_write2_b32 v66, v39, v41 offset0:180 offset1:225
	ds_write_b32 v66, v48 offset:1080
	ds_write2_b32 v68, v24, v27 offset1:45
	ds_write2_b32 v68, v47, v49 offset0:90 offset1:135
	ds_write2_b32 v68, v50, v51 offset0:180 offset1:225
	ds_write_b32 v68, v52 offset:1080
	s_and_saveexec_b64 s[2:3], s[0:1]
	s_cbranch_execz .LBB0_35
; %bb.34:
	v_add_f32_e32 v1, v71, v77
	v_add_f32_e32 v21, v72, v75
	;; [unrolled: 1-line block ×3, first 2 shown]
	v_sub_f32_e32 v5, v5, v74
	v_sub_f32_e32 v22, v22, v23
	v_add_f32_e32 v23, v21, v1
	v_sub_f32_e32 v24, v21, v1
	v_sub_f32_e32 v21, v15, v21
	;; [unrolled: 1-line block ×4, first 2 shown]
	v_add_f32_e32 v25, v22, v5
	v_sub_f32_e32 v26, v22, v5
	v_add_f32_e32 v15, v15, v23
	v_mul_f32_e32 v23, 0x3d64c772, v21
	s_mov_b32 s1, 0x3f3bfb3b
	v_sub_f32_e32 v22, v20, v22
	v_sub_f32_e32 v5, v5, v20
	v_add_f32_e32 v20, v25, v20
	v_add_f32_e32 v4, v4, v15
	v_mul_f32_e32 v1, 0x3f4a47b2, v1
	v_mul_f32_e32 v25, 0xbf08b237, v26
	s_mov_b32 s0, 0x3f5ff5aa
	v_fma_f32 v23, v24, s1, -v23
	s_mov_b32 s1, 0xbf3bfb3b
	v_mul_f32_e32 v26, 0x3f5ff5aa, v5
	v_fmamk_f32 v15, v15, 0xbf955555, v4
	v_fma_f32 v24, v24, s1, -v1
	v_fmac_f32_e32 v1, 0x3d64c772, v21
	v_fmamk_f32 v21, v22, 0x3eae86e6, v25
	v_fma_f32 v5, v5, s0, -v25
	s_mov_b32 s0, 0xbeae86e6
	v_fma_f32 v22, v22, s0, -v26
	v_add_f32_e32 v1, v1, v15
	v_fmac_f32_e32 v21, 0x3ee1c552, v20
	v_add_f32_e32 v23, v23, v15
	v_add_f32_e32 v15, v24, v15
	v_fmac_f32_e32 v5, 0x3ee1c552, v20
	v_fmac_f32_e32 v22, 0x3ee1c552, v20
	v_sub_f32_e32 v20, v1, v21
	v_add_f32_e32 v1, v21, v1
	v_add_u32_e32 v21, 0x1200, v64
	v_sub_f32_e32 v24, v15, v22
	v_add_f32_e32 v25, v5, v23
	ds_write2_b32 v21, v4, v20 offset0:108 offset1:153
	v_add_u32_e32 v4, 0x1400, v64
	v_sub_f32_e32 v5, v23, v5
	v_add_f32_e32 v15, v22, v15
	ds_write2_b32 v4, v24, v25 offset0:70 offset1:115
	ds_write2_b32 v4, v5, v15 offset0:160 offset1:205
	ds_write_b32 v64, v1 offset:6120
.LBB0_35:
	s_or_b64 exec, exec, s[2:3]
	s_waitcnt lgkmcnt(0)
	; wave barrier
	s_waitcnt lgkmcnt(0)
	s_and_saveexec_b64 s[0:1], vcc
	s_cbranch_execz .LBB0_37
; %bb.36:
	v_lshlrev_b32_e32 v20, 2, v11
	v_mov_b32_e32 v21, 0
	v_lshl_add_u64 v[4:5], v[20:21], 3, s[4:5]
	v_lshlrev_b32_e32 v20, 2, v106
	v_lshl_add_u64 v[34:35], v[20:21], 3, s[4:5]
	v_lshlrev_b32_e32 v20, 2, v105
	;; [unrolled: 2-line block ×4, first 2 shown]
	v_lshl_add_u64 v[20:21], v[20:21], 3, s[4:5]
	global_load_dwordx4 v[64:67], v[20:21], off offset:2496
	global_load_dwordx4 v[68:71], v[20:21], off offset:2512
	v_add_u32_e32 v11, 0xc00, v59
	v_add_u32_e32 v21, 0x600, v59
	;; [unrolled: 1-line block ×9, first 2 shown]
	ds_read_b32 v74, v63
	ds_read_b32 v1, v61
	;; [unrolled: 1-line block ×5, first 2 shown]
	ds_read_b32 v20, v59 offset:6048
	ds_read_b32 v47, v59
	v_mad_u64_u32 v[58:59], s[0:1], s8, v62, 0
	v_add_u32_e32 v57, 0x13b, v62
	v_add_u32_e32 v61, 0x276, v62
	;; [unrolled: 1-line block ×4, first 2 shown]
	ds_read2_b32 v[24:25], v11 offset0:114 offset1:177
	ds_read2_b32 v[26:27], v21 offset0:120 offset1:183
	;; [unrolled: 1-line block ×9, first 2 shown]
	v_mov_b32_e32 v82, v59
	v_mad_u64_u32 v[84:85], s[2:3], s8, v57, 0
	v_mad_u64_u32 v[86:87], s[2:3], s8, v61, 0
	;; [unrolled: 1-line block ×5, first 2 shown]
	v_mov_b32_e32 v92, v85
	v_mov_b32_e32 v94, v87
	;; [unrolled: 1-line block ×5, first 2 shown]
	v_mad_u64_u32 v[82:83], s[2:3], s9, v57, v[92:93]
	v_mad_u64_u32 v[92:93], s[2:3], s9, v61, v[94:95]
	;; [unrolled: 1-line block ×4, first 2 shown]
	v_lshl_add_u64 v[98:99], v[58:59], 3, v[8:9]
	v_mov_b32_e32 v85, v82
	v_mov_b32_e32 v87, v92
	;; [unrolled: 1-line block ×4, first 2 shown]
	s_waitcnt lgkmcnt(8)
	v_mov_b32_e32 v58, v25
	v_mov_b32_e32 v60, v3
	;; [unrolled: 1-line block ×3, first 2 shown]
	v_lshl_add_u64 v[82:83], v[84:85], 3, v[8:9]
	v_lshl_add_u64 v[84:85], v[86:87], 3, v[8:9]
	;; [unrolled: 1-line block ×4, first 2 shown]
	s_mov_b32 s2, 0x3f737871
	s_mov_b32 s4, 0x3f167918
	s_movk_i32 s1, 0x4ec
	s_mov_b32 s0, 0x3e9e377a
	v_add_u32_e32 v3, 0x17a, v62
	s_waitcnt vmcnt(1) lgkmcnt(1)
	v_pk_mul_f32 v[90:91], v[66:67], v[78:79] op_sel_hi:[1,0]
	s_waitcnt vmcnt(0)
	v_pk_mul_f32 v[58:59], v[68:69], v[58:59] op_sel_hi:[1,0]
	v_pk_fma_f32 v[92:93], v[44:45], v[66:67], v[90:91] op_sel:[0,0,1] op_sel_hi:[1,1,0] neg_lo:[0,0,1] neg_hi:[0,0,1]
	v_pk_fma_f32 v[66:67], v[44:45], v[66:67], v[90:91] op_sel:[0,0,1] op_sel_hi:[0,1,0]
	v_pk_fma_f32 v[90:91], v[60:61], v[68:69], v[58:59] op_sel:[0,0,1] op_sel_hi:[1,1,0] neg_lo:[0,0,1] neg_hi:[0,0,1]
	v_pk_fma_f32 v[58:59], v[76:77], v[68:69], v[58:59] op_sel:[0,0,1] op_sel_hi:[0,1,0]
	v_mov_b32_e32 v91, v59
	v_pk_mul_f32 v[58:59], v[64:65], v[74:75] op_sel_hi:[1,0]
	v_mov_b32_e32 v93, v67
	v_pk_fma_f32 v[68:69], v[54:55], v[64:65], v[58:59] op_sel:[0,0,1] op_sel_hi:[1,1,0] neg_lo:[0,0,1] neg_hi:[0,0,1]
	v_pk_fma_f32 v[54:55], v[54:55], v[64:65], v[58:59] op_sel:[0,0,1] op_sel_hi:[0,1,0]
	v_mov_b32_e32 v69, v55
	s_waitcnt lgkmcnt(0)
	v_pk_mul_f32 v[54:55], v[70:71], v[80:81] op_sel_hi:[1,0]
	v_pk_add_f32 v[94:95], v[92:93], v[90:91] neg_lo:[0,1] neg_hi:[0,1]
	v_pk_fma_f32 v[74:75], v[42:43], v[70:71], v[54:55] op_sel:[0,0,1] op_sel_hi:[1,1,0] neg_lo:[0,0,1] neg_hi:[0,0,1]
	v_pk_fma_f32 v[54:55], v[42:43], v[70:71], v[54:55] op_sel:[0,0,1] op_sel_hi:[0,1,0]
	v_mov_b32_e32 v75, v55
	v_pk_add_f32 v[54:55], v[68:69], v[92:93] neg_lo:[0,1] neg_hi:[0,1]
	v_pk_add_f32 v[58:59], v[74:75], v[90:91] neg_lo:[0,1] neg_hi:[0,1]
	v_pk_add_f32 v[70:71], v[92:93], v[90:91]
	v_pk_add_f32 v[54:55], v[54:55], v[58:59]
	global_load_dwordx4 v[58:61], v[72:73], off offset:2512
	global_load_dwordx4 v[64:67], v[72:73], off offset:2496
	v_pk_fma_f32 v[70:71], v[70:71], 0.5, v[46:47] op_sel_hi:[1,0,1] neg_lo:[1,0,0] neg_hi:[1,0,0]
	v_pk_add_f32 v[72:73], v[68:69], v[74:75] neg_lo:[0,1] neg_hi:[0,1]
	v_pk_add_f32 v[100:101], v[46:47], v[68:69]
	v_pk_fma_f32 v[76:77], v[72:73], s[2:3], v[70:71] op_sel:[1,0,0] op_sel_hi:[0,0,1] neg_lo:[1,0,0] neg_hi:[1,0,0]
	v_pk_fma_f32 v[70:71], v[72:73], s[2:3], v[70:71] op_sel:[1,0,0] op_sel_hi:[0,0,1]
	v_pk_fma_f32 v[70:71], v[94:95], s[4:5], v[70:71] op_sel:[1,0,0] op_sel_hi:[0,0,1]
	v_pk_fma_f32 v[76:77], v[94:95], s[4:5], v[76:77] op_sel:[1,0,0] op_sel_hi:[0,0,1] neg_lo:[1,0,0] neg_hi:[1,0,0]
	v_pk_add_f32 v[100:101], v[100:101], v[92:93]
	v_mov_b32_e32 v96, v76
	v_mov_b32_e32 v97, v71
	v_pk_add_f32 v[100:101], v[100:101], v[90:91]
	v_mov_b32_e32 v71, v77
	v_pk_fma_f32 v[96:97], v[54:55], s[0:1], v[96:97] op_sel_hi:[1,0,1]
	v_pk_add_f32 v[100:101], v[74:75], v[100:101]
	v_pk_fma_f32 v[54:55], v[54:55], s[0:1], v[70:71] op_sel_hi:[1,0,1]
	global_store_dwordx2 v[98:99], v[100:101], off
	global_store_dwordx2 v[82:83], v[54:55], off
	v_pk_add_f32 v[54:55], v[68:69], v[74:75]
	v_mov_b32_e32 v44, v45
	v_pk_fma_f32 v[46:47], v[54:55], 0.5, v[46:47] op_sel_hi:[1,0,1] neg_lo:[1,0,0] neg_hi:[1,0,0]
	v_pk_add_f32 v[54:55], v[92:93], v[68:69] neg_lo:[0,1] neg_hi:[0,1]
	v_pk_add_f32 v[68:69], v[90:91], v[74:75] neg_lo:[0,1] neg_hi:[0,1]
	s_nop 0
	v_pk_add_f32 v[54:55], v[54:55], v[68:69]
	v_pk_fma_f32 v[68:69], v[94:95], s[2:3], v[46:47] op_sel:[1,0,0] op_sel_hi:[0,0,1]
	v_pk_fma_f32 v[46:47], v[94:95], s[2:3], v[46:47] op_sel:[1,0,0] op_sel_hi:[0,0,1] neg_lo:[1,0,0] neg_hi:[1,0,0]
	v_pk_fma_f32 v[46:47], v[72:73], s[4:5], v[46:47] op_sel:[1,0,0] op_sel_hi:[0,0,1]
	v_pk_fma_f32 v[68:69], v[72:73], s[4:5], v[68:69] op_sel:[1,0,0] op_sel_hi:[0,0,1] neg_lo:[1,0,0] neg_hi:[1,0,0]
	v_mov_b32_e32 v71, v47
	v_mov_b32_e32 v47, v69
	;; [unrolled: 1-line block ×3, first 2 shown]
	v_pk_fma_f32 v[46:47], v[54:55], s[0:1], v[46:47] op_sel_hi:[1,0,1]
	v_pk_fma_f32 v[70:71], v[54:55], s[0:1], v[70:71] op_sel_hi:[1,0,1]
	global_store_dwordx2 v[84:85], v[46:47], off
	global_store_dwordx2 v[86:87], v[70:71], off
	global_store_dwordx2 v[88:89], v[96:97], off
	v_mad_u64_u32 v[46:47], s[6:7], s8, v104, 0
	v_mov_b32_e32 v42, v47
	v_mad_u64_u32 v[54:55], s[6:7], s9, v104, v[42:43]
	v_mov_b32_e32 v47, v54
	;; [unrolled: 2-line block ×3, first 2 shown]
	v_mad_u64_u32 v[68:69], s[6:7], s9, v3, v[42:43]
	v_add_u32_e32 v3, 0x2b5, v62
	v_mov_b32_e32 v55, v68
	v_mad_u64_u32 v[68:69], s[6:7], s8, v3, 0
	v_mov_b32_e32 v42, v69
	v_mad_u64_u32 v[70:71], s[6:7], s9, v3, v[42:43]
	v_add_u32_e32 v3, 0x3f0, v62
	v_mov_b32_e32 v69, v70
	v_mad_u64_u32 v[70:71], s[6:7], s8, v3, 0
	v_mov_b32_e32 v42, v71
	;; [unrolled: 5-line block ×3, first 2 shown]
	v_mad_u64_u32 v[74:75], s[6:7], s9, v3, v[42:43]
	v_mov_b32_e32 v73, v74
	v_mov_b32_e32 v74, v79
	;; [unrolled: 1-line block ×3, first 2 shown]
	v_lshl_add_u64 v[46:47], v[46:47], 3, v[8:9]
	v_lshl_add_u64 v[54:55], v[54:55], 3, v[8:9]
	;; [unrolled: 1-line block ×3, first 2 shown]
	v_add_u32_e32 v3, 0x7e, v62
	v_lshl_add_u64 v[70:71], v[70:71], 3, v[8:9]
	v_lshl_add_u64 v[72:73], v[72:73], 3, v[8:9]
	s_waitcnt vmcnt(5)
	v_pk_mul_f32 v[74:75], v[66:67], v[74:75] op_sel_hi:[1,0]
	s_nop 0
	v_pk_fma_f32 v[76:77], v[42:43], v[66:67], v[74:75] op_sel:[0,0,1] op_sel_hi:[1,1,0] neg_lo:[0,0,1] neg_hi:[0,0,1]
	v_pk_fma_f32 v[44:45], v[44:45], v[66:67], v[74:75] op_sel:[0,0,1] op_sel_hi:[0,1,0]
	v_mov_b32_e32 v77, v45
	v_pk_mul_f32 v[44:45], v[58:59], v[52:53] op_sel_hi:[1,0]
	v_mov_b32_e32 v42, v81
	v_pk_fma_f32 v[66:67], v[32:33], v[58:59], v[44:45] op_sel:[0,0,1] op_sel_hi:[1,1,0] neg_lo:[0,0,1] neg_hi:[0,0,1]
	v_pk_fma_f32 v[44:45], v[32:33], v[58:59], v[44:45] op_sel:[0,0,1] op_sel_hi:[0,1,0]
	v_mov_b32_e32 v67, v45
	v_pk_mul_f32 v[44:45], v[64:65], v[50:51] op_sel_hi:[1,0]
	v_mov_b32_e32 v32, v43
	v_pk_fma_f32 v[74:75], v[30:31], v[64:65], v[44:45] op_sel:[0,0,1] op_sel_hi:[1,1,0] neg_lo:[0,0,1] neg_hi:[0,0,1]
	v_pk_fma_f32 v[44:45], v[30:31], v[64:65], v[44:45] op_sel:[0,0,1] op_sel_hi:[0,1,0]
	v_mov_b32_e32 v30, v43
	v_pk_mul_f32 v[42:43], v[60:61], v[42:43] op_sel_hi:[1,0]
	v_mov_b32_e32 v75, v45
	v_pk_fma_f32 v[64:65], v[30:31], v[60:61], v[42:43] op_sel:[0,0,1] op_sel_hi:[1,1,0] neg_lo:[0,0,1] neg_hi:[0,0,1]
	v_pk_fma_f32 v[42:43], v[32:33], v[60:61], v[42:43] op_sel:[0,0,1] op_sel_hi:[0,1,0]
	v_mov_b32_e32 v65, v43
	global_load_dwordx4 v[42:45], v[48:49], off offset:2512
	global_load_dwordx4 v[58:61], v[48:49], off offset:2496
	v_pk_add_f32 v[48:49], v[74:75], v[76:77] neg_lo:[0,1] neg_hi:[0,1]
	v_pk_add_f32 v[78:79], v[64:65], v[66:67] neg_lo:[0,1] neg_hi:[0,1]
	;; [unrolled: 1-line block ×3, first 2 shown]
	v_pk_add_f32 v[48:49], v[48:49], v[78:79]
	v_pk_add_f32 v[78:79], v[76:77], v[66:67]
	;; [unrolled: 1-line block ×3, first 2 shown]
	v_pk_fma_f32 v[78:79], v[78:79], 0.5, v[40:41] op_sel_hi:[1,0,1] neg_lo:[1,0,0] neg_hi:[1,0,0]
	v_pk_add_f32 v[84:85], v[76:77], v[66:67] neg_lo:[0,1] neg_hi:[0,1]
	v_pk_fma_f32 v[82:83], v[80:81], s[2:3], v[78:79] op_sel:[1,0,0] op_sel_hi:[0,0,1] neg_lo:[1,0,0] neg_hi:[1,0,0]
	v_pk_fma_f32 v[78:79], v[80:81], s[2:3], v[78:79] op_sel:[1,0,0] op_sel_hi:[0,0,1]
	v_pk_add_f32 v[88:89], v[88:89], v[76:77]
	v_pk_fma_f32 v[78:79], v[84:85], s[4:5], v[78:79] op_sel:[1,0,0] op_sel_hi:[0,0,1]
	v_pk_fma_f32 v[82:83], v[84:85], s[4:5], v[82:83] op_sel:[1,0,0] op_sel_hi:[0,0,1] neg_lo:[1,0,0] neg_hi:[1,0,0]
	v_pk_add_f32 v[88:89], v[88:89], v[66:67]
	v_mov_b32_e32 v87, v79
	v_pk_add_f32 v[88:89], v[64:65], v[88:89]
	v_mov_b32_e32 v79, v83
	v_mov_b32_e32 v86, v82
	global_store_dwordx2 v[46:47], v[88:89], off
	v_pk_fma_f32 v[46:47], v[48:49], s[0:1], v[78:79] op_sel_hi:[1,0,1]
	v_pk_fma_f32 v[86:87], v[48:49], s[0:1], v[86:87] op_sel_hi:[1,0,1]
	global_store_dwordx2 v[54:55], v[46:47], off
	v_pk_add_f32 v[46:47], v[76:77], v[74:75] neg_lo:[0,1] neg_hi:[0,1]
	v_pk_add_f32 v[48:49], v[66:67], v[64:65] neg_lo:[0,1] neg_hi:[0,1]
	v_mov_b32_e32 v32, v53
	v_pk_add_f32 v[46:47], v[46:47], v[48:49]
	v_pk_add_f32 v[48:49], v[74:75], v[64:65]
	s_nop 0
	v_pk_fma_f32 v[40:41], v[48:49], 0.5, v[40:41] op_sel_hi:[1,0,1] neg_lo:[1,0,0] neg_hi:[1,0,0]
	s_nop 0
	v_pk_fma_f32 v[48:49], v[84:85], s[2:3], v[40:41] op_sel:[1,0,0] op_sel_hi:[0,0,1]
	v_pk_fma_f32 v[40:41], v[84:85], s[2:3], v[40:41] op_sel:[1,0,0] op_sel_hi:[0,0,1] neg_lo:[1,0,0] neg_hi:[1,0,0]
	v_pk_fma_f32 v[40:41], v[80:81], s[4:5], v[40:41] op_sel:[1,0,0] op_sel_hi:[0,0,1]
	v_pk_fma_f32 v[48:49], v[80:81], s[4:5], v[48:49] op_sel:[1,0,0] op_sel_hi:[0,0,1] neg_lo:[1,0,0] neg_hi:[1,0,0]
	v_mov_b32_e32 v55, v41
	v_mov_b32_e32 v41, v49
	;; [unrolled: 1-line block ×3, first 2 shown]
	v_pk_fma_f32 v[40:41], v[46:47], s[0:1], v[40:41] op_sel_hi:[1,0,1]
	v_pk_fma_f32 v[54:55], v[46:47], s[0:1], v[54:55] op_sel_hi:[1,0,1]
	global_store_dwordx2 v[68:69], v[40:41], off
	global_store_dwordx2 v[70:71], v[54:55], off
	;; [unrolled: 1-line block ×3, first 2 shown]
	v_mad_u64_u32 v[40:41], s[6:7], s8, v3, 0
	v_mov_b32_e32 v30, v41
	v_mad_u64_u32 v[46:47], s[6:7], s9, v3, v[30:31]
	v_mov_b32_e32 v41, v46
	v_add_u32_e32 v3, 0x1b9, v62
	v_lshl_add_u64 v[46:47], v[40:41], 3, v[8:9]
	v_mad_u64_u32 v[40:41], s[6:7], s8, v3, 0
	v_mov_b32_e32 v30, v41
	v_mad_u64_u32 v[48:49], s[6:7], s9, v3, v[30:31]
	v_mov_b32_e32 v41, v48
	v_add_u32_e32 v3, 0x2f4, v62
	v_lshl_add_u64 v[48:49], v[40:41], 3, v[8:9]
	v_mad_u64_u32 v[40:41], s[6:7], s8, v3, 0
	v_mov_b32_e32 v30, v41
	v_mad_u64_u32 v[54:55], s[6:7], s9, v3, v[30:31]
	v_mov_b32_e32 v41, v54
	v_add_u32_e32 v3, 0x42f, v62
	v_lshl_add_u64 v[54:55], v[40:41], 3, v[8:9]
	v_mad_u64_u32 v[40:41], s[6:7], s8, v3, 0
	v_mov_b32_e32 v30, v41
	v_mad_u64_u32 v[64:65], s[6:7], s9, v3, v[30:31]
	v_mov_b32_e32 v41, v64
	v_add_u32_e32 v3, 0x56a, v62
	v_lshl_add_u64 v[64:65], v[40:41], 3, v[8:9]
	v_mad_u64_u32 v[40:41], s[6:7], s8, v3, 0
	v_mov_b32_e32 v30, v41
	v_mad_u64_u32 v[66:67], s[6:7], s9, v3, v[30:31]
	v_mov_b32_e32 v41, v66
	v_lshl_add_u64 v[66:67], v[40:41], 3, v[8:9]
	s_waitcnt vmcnt(5)
	v_pk_mul_f32 v[40:41], v[60:61], v[38:39] op_sel_hi:[1,0]
	v_mov_b32_e32 v30, v33
	v_pk_fma_f32 v[68:69], v[18:19], v[60:61], v[40:41] op_sel:[0,0,1] op_sel_hi:[1,1,0] neg_lo:[0,0,1] neg_hi:[0,0,1]
	v_pk_fma_f32 v[40:41], v[18:19], v[60:61], v[40:41] op_sel:[0,0,1] op_sel_hi:[0,1,0]
	v_mov_b32_e32 v18, v33
	v_pk_mul_f32 v[32:33], v[42:43], v[32:33] op_sel_hi:[1,0]
	v_mov_b32_e32 v69, v41
	v_pk_fma_f32 v[52:53], v[18:19], v[42:43], v[32:33] op_sel:[0,0,1] op_sel_hi:[1,1,0] neg_lo:[0,0,1] neg_hi:[0,0,1]
	v_pk_fma_f32 v[32:33], v[30:31], v[42:43], v[32:33] op_sel:[0,0,1] op_sel_hi:[0,1,0]
	v_mov_b32_e32 v32, v51
	v_mov_b32_e32 v53, v33
	;; [unrolled: 1-line block ×4, first 2 shown]
	v_pk_mul_f32 v[32:33], v[58:59], v[32:33] op_sel_hi:[1,0]
	v_pk_add_f32 v[72:73], v[68:69], v[52:53] neg_lo:[0,1] neg_hi:[0,1]
	v_pk_fma_f32 v[50:51], v[18:19], v[58:59], v[32:33] op_sel:[0,0,1] op_sel_hi:[1,1,0] neg_lo:[0,0,1] neg_hi:[0,0,1]
	v_pk_fma_f32 v[30:31], v[30:31], v[58:59], v[32:33] op_sel:[0,0,1] op_sel_hi:[0,1,0]
	v_mov_b32_e32 v51, v31
	v_pk_mul_f32 v[30:31], v[44:45], v[36:37] op_sel_hi:[1,0]
	v_pk_add_f32 v[76:77], v[28:29], v[50:51]
	v_pk_fma_f32 v[58:59], v[16:17], v[44:45], v[30:31] op_sel:[0,0,1] op_sel_hi:[1,1,0] neg_lo:[0,0,1] neg_hi:[0,0,1]
	v_pk_fma_f32 v[44:45], v[16:17], v[44:45], v[30:31] op_sel:[0,0,1] op_sel_hi:[0,1,0]
	global_load_dwordx4 v[30:33], v[34:35], off offset:2512
	global_load_dwordx4 v[40:43], v[34:35], off offset:2496
	v_mov_b32_e32 v59, v45
	v_pk_add_f32 v[34:35], v[50:51], v[68:69] neg_lo:[0,1] neg_hi:[0,1]
	v_pk_add_f32 v[44:45], v[58:59], v[52:53] neg_lo:[0,1] neg_hi:[0,1]
	v_pk_add_f32 v[60:61], v[50:51], v[58:59] neg_lo:[0,1] neg_hi:[0,1]
	v_pk_add_f32 v[34:35], v[34:35], v[44:45]
	v_pk_add_f32 v[44:45], v[68:69], v[52:53]
	;; [unrolled: 1-line block ×3, first 2 shown]
	v_pk_fma_f32 v[44:45], v[44:45], 0.5, v[28:29] op_sel_hi:[1,0,1] neg_lo:[1,0,0] neg_hi:[1,0,0]
	v_pk_add_f32 v[76:77], v[76:77], v[52:53]
	v_pk_fma_f32 v[70:71], v[60:61], s[2:3], v[44:45] op_sel:[1,0,0] op_sel_hi:[0,0,1] neg_lo:[1,0,0] neg_hi:[1,0,0]
	v_pk_fma_f32 v[44:45], v[60:61], s[2:3], v[44:45] op_sel:[1,0,0] op_sel_hi:[0,0,1]
	v_pk_fma_f32 v[44:45], v[72:73], s[4:5], v[44:45] op_sel:[1,0,0] op_sel_hi:[0,0,1]
	v_pk_fma_f32 v[70:71], v[72:73], s[4:5], v[70:71] op_sel:[1,0,0] op_sel_hi:[0,0,1] neg_lo:[1,0,0] neg_hi:[1,0,0]
	v_mov_b32_e32 v74, v70
	v_mov_b32_e32 v75, v45
	;; [unrolled: 1-line block ×3, first 2 shown]
	v_pk_fma_f32 v[74:75], v[34:35], s[0:1], v[74:75] op_sel_hi:[1,0,1]
	v_pk_add_f32 v[76:77], v[58:59], v[76:77]
	v_pk_fma_f32 v[34:35], v[34:35], s[0:1], v[44:45] op_sel_hi:[1,0,1]
	global_store_dwordx2 v[46:47], v[76:77], off
	global_store_dwordx2 v[48:49], v[34:35], off
	v_pk_add_f32 v[34:35], v[50:51], v[58:59]
	v_pk_add_f32 v[44:45], v[52:53], v[58:59] neg_lo:[0,1] neg_hi:[0,1]
	v_pk_fma_f32 v[28:29], v[34:35], 0.5, v[28:29] op_sel_hi:[1,0,1] neg_lo:[1,0,0] neg_hi:[1,0,0]
	v_pk_add_f32 v[34:35], v[68:69], v[50:51] neg_lo:[0,1] neg_hi:[0,1]
	v_add_u32_e32 v3, 0xbd, v62
	v_pk_add_f32 v[34:35], v[34:35], v[44:45]
	v_pk_fma_f32 v[44:45], v[72:73], s[2:3], v[28:29] op_sel:[1,0,0] op_sel_hi:[0,0,1]
	v_pk_fma_f32 v[28:29], v[72:73], s[2:3], v[28:29] op_sel:[1,0,0] op_sel_hi:[0,0,1] neg_lo:[1,0,0] neg_hi:[1,0,0]
	v_pk_fma_f32 v[28:29], v[60:61], s[4:5], v[28:29] op_sel:[1,0,0] op_sel_hi:[0,0,1]
	v_pk_fma_f32 v[44:45], v[60:61], s[4:5], v[44:45] op_sel:[1,0,0] op_sel_hi:[0,0,1] neg_lo:[1,0,0] neg_hi:[1,0,0]
	v_mov_b32_e32 v47, v29
	v_mov_b32_e32 v29, v45
	;; [unrolled: 1-line block ×3, first 2 shown]
	v_pk_fma_f32 v[28:29], v[34:35], s[0:1], v[28:29] op_sel_hi:[1,0,1]
	v_pk_fma_f32 v[46:47], v[34:35], s[0:1], v[46:47] op_sel_hi:[1,0,1]
	global_store_dwordx2 v[54:55], v[28:29], off
	global_store_dwordx2 v[64:65], v[46:47], off
	;; [unrolled: 1-line block ×3, first 2 shown]
	v_mad_u64_u32 v[28:29], s[6:7], s8, v3, 0
	v_mov_b32_e32 v16, v29
	v_mad_u64_u32 v[34:35], s[6:7], s9, v3, v[16:17]
	v_mov_b32_e32 v29, v34
	v_lshl_add_u64 v[34:35], v[28:29], 3, v[8:9]
	v_mad_u64_u32 v[28:29], s[6:7], s8, v56, 0
	v_mov_b32_e32 v16, v29
	v_mad_u64_u32 v[44:45], s[6:7], s9, v56, v[16:17]
	v_mov_b32_e32 v29, v44
	v_add_u32_e32 v3, 0x333, v62
	v_lshl_add_u64 v[44:45], v[28:29], 3, v[8:9]
	v_mad_u64_u32 v[28:29], s[6:7], s8, v3, 0
	v_mov_b32_e32 v16, v29
	v_mad_u64_u32 v[46:47], s[6:7], s9, v3, v[16:17]
	v_mov_b32_e32 v29, v46
	v_add_u32_e32 v3, 0x46e, v62
	;; [unrolled: 6-line block ×3, first 2 shown]
	v_lshl_add_u64 v[48:49], v[28:29], 3, v[8:9]
	v_mad_u64_u32 v[28:29], s[6:7], s8, v3, 0
	v_mov_b32_e32 v16, v29
	v_mad_u64_u32 v[50:51], s[6:7], s9, v3, v[16:17]
	v_mov_b32_e32 v29, v50
	v_lshl_add_u64 v[50:51], v[28:29], 3, v[8:9]
	v_mov_b32_e32 v18, v39
	v_mov_b32_e32 v16, v19
	v_add_u32_e32 v3, 0xfc, v62
	s_waitcnt vmcnt(5)
	v_pk_mul_f32 v[28:29], v[40:41], v[26:27] op_sel_hi:[1,0]
	s_nop 0
	v_pk_fma_f32 v[52:53], v[12:13], v[40:41], v[28:29] op_sel:[0,0,1] op_sel_hi:[1,1,0] neg_lo:[0,0,1] neg_hi:[0,0,1]
	v_pk_fma_f32 v[28:29], v[12:13], v[40:41], v[28:29] op_sel:[0,0,1] op_sel_hi:[0,1,0]
	v_mov_b32_e32 v12, v19
	v_pk_mul_f32 v[18:19], v[42:43], v[18:19] op_sel_hi:[1,0]
	v_mov_b32_e32 v53, v29
	v_pk_fma_f32 v[38:39], v[12:13], v[42:43], v[18:19] op_sel:[0,0,1] op_sel_hi:[1,1,0] neg_lo:[0,0,1] neg_hi:[0,0,1]
	v_pk_fma_f32 v[18:19], v[16:17], v[42:43], v[18:19] op_sel:[0,0,1] op_sel_hi:[0,1,0]
	v_mov_b32_e32 v18, v37
	v_mov_b32_e32 v39, v19
	v_mov_b32_e32 v12, v17
	v_mov_b32_e32 v16, v17
	v_pk_mul_f32 v[18:19], v[32:33], v[18:19] op_sel_hi:[1,0]
	v_pk_add_f32 v[60:61], v[14:15], v[52:53]
	v_pk_fma_f32 v[36:37], v[12:13], v[32:33], v[18:19] op_sel:[0,0,1] op_sel_hi:[1,1,0] neg_lo:[0,0,1] neg_hi:[0,0,1]
	v_pk_fma_f32 v[16:17], v[16:17], v[32:33], v[18:19] op_sel:[0,0,1] op_sel_hi:[0,1,0]
	v_mov_b32_e32 v37, v17
	v_pk_mul_f32 v[16:17], v[30:31], v[22:23] op_sel_hi:[1,0]
	v_pk_add_f32 v[40:41], v[52:53], v[36:37] neg_lo:[0,1] neg_hi:[0,1]
	v_pk_fma_f32 v[32:33], v[6:7], v[30:31], v[16:17] op_sel:[0,0,1] op_sel_hi:[1,1,0] neg_lo:[0,0,1] neg_hi:[0,0,1]
	v_pk_fma_f32 v[16:17], v[6:7], v[30:31], v[16:17] op_sel:[0,0,1] op_sel_hi:[0,1,0]
	v_mov_b32_e32 v33, v17
	v_pk_add_f32 v[16:17], v[38:39], v[32:33]
	v_pk_add_f32 v[42:43], v[38:39], v[32:33] neg_lo:[0,1] neg_hi:[0,1]
	v_pk_fma_f32 v[16:17], v[16:17], 0.5, v[14:15] op_sel_hi:[1,0,1] neg_lo:[1,0,0] neg_hi:[1,0,0]
	v_pk_add_f32 v[18:19], v[52:53], v[38:39] neg_lo:[0,1] neg_hi:[0,1]
	v_pk_add_f32 v[28:29], v[36:37], v[32:33] neg_lo:[0,1] neg_hi:[0,1]
	v_pk_fma_f32 v[56:57], v[40:41], s[2:3], v[16:17] op_sel:[1,0,0] op_sel_hi:[0,0,1] neg_lo:[1,0,0] neg_hi:[1,0,0]
	v_pk_fma_f32 v[16:17], v[40:41], s[2:3], v[16:17] op_sel:[1,0,0] op_sel_hi:[0,0,1]
	v_pk_add_f32 v[54:55], v[18:19], v[28:29]
	v_pk_fma_f32 v[58:59], v[42:43], s[4:5], v[16:17] op_sel:[1,0,0] op_sel_hi:[0,0,1]
	global_load_dwordx4 v[16:19], v[4:5], off offset:2512
	global_load_dwordx4 v[28:31], v[4:5], off offset:2496
	v_pk_fma_f32 v[4:5], v[42:43], s[4:5], v[56:57] op_sel:[1,0,0] op_sel_hi:[0,0,1] neg_lo:[1,0,0] neg_hi:[1,0,0]
	v_pk_add_f32 v[60:61], v[38:39], v[60:61]
	v_mov_b32_e32 v57, v59
	v_pk_add_f32 v[60:61], v[60:61], v[32:33]
	v_mov_b32_e32 v59, v5
	v_mov_b32_e32 v56, v4
	v_pk_add_f32 v[60:61], v[60:61], v[36:37]
	v_pk_fma_f32 v[4:5], v[54:55], s[0:1], v[58:59] op_sel_hi:[1,0,1]
	global_store_dwordx2 v[34:35], v[60:61], off
	global_store_dwordx2 v[44:45], v[4:5], off
	v_pk_add_f32 v[4:5], v[38:39], v[52:53] neg_lo:[0,1] neg_hi:[0,1]
	v_pk_add_f32 v[32:33], v[32:33], v[36:37] neg_lo:[0,1] neg_hi:[0,1]
	v_pk_fma_f32 v[56:57], v[54:55], s[0:1], v[56:57] op_sel_hi:[1,0,1]
	v_pk_add_f32 v[4:5], v[4:5], v[32:33]
	v_pk_add_f32 v[32:33], v[52:53], v[36:37]
	v_mov_b32_e32 v22, v27
	v_pk_fma_f32 v[14:15], v[32:33], 0.5, v[14:15] op_sel_hi:[1,0,1] neg_lo:[1,0,0] neg_hi:[1,0,0]
	v_mov_b32_e32 v12, v13
	v_pk_fma_f32 v[32:33], v[42:43], s[2:3], v[14:15] op_sel:[1,0,0] op_sel_hi:[0,0,1]
	v_pk_fma_f32 v[14:15], v[42:43], s[2:3], v[14:15] op_sel:[1,0,0] op_sel_hi:[0,0,1] neg_lo:[1,0,0] neg_hi:[1,0,0]
	v_pk_fma_f32 v[14:15], v[40:41], s[4:5], v[14:15] op_sel:[1,0,0] op_sel_hi:[0,0,1]
	v_pk_fma_f32 v[32:33], v[40:41], s[4:5], v[32:33] op_sel:[1,0,0] op_sel_hi:[0,0,1] neg_lo:[1,0,0] neg_hi:[1,0,0]
	v_mov_b32_e32 v34, v32
	v_mov_b32_e32 v35, v15
	;; [unrolled: 1-line block ×3, first 2 shown]
	v_pk_fma_f32 v[34:35], v[4:5], s[0:1], v[34:35] op_sel_hi:[1,0,1]
	v_pk_fma_f32 v[4:5], v[4:5], s[0:1], v[14:15] op_sel_hi:[1,0,1]
	s_mov_b32 s3, 0xa01a01a1
	global_store_dwordx2 v[46:47], v[4:5], off
	global_store_dwordx2 v[48:49], v[34:35], off
	;; [unrolled: 1-line block ×3, first 2 shown]
	v_mul_hi_u32 v4, v3, s3
	v_sub_u32_e32 v5, v3, v4
	v_lshrrev_b32_e32 v5, 1, v5
	v_add_u32_e32 v4, v5, v4
	v_lshrrev_b32_e32 v4, 8, v4
	v_mad_u32_u24 v3, v4, s1, v3
	v_mad_u64_u32 v[4:5], s[6:7], s8, v3, 0
	v_mov_b32_e32 v6, v5
	v_mad_u64_u32 v[14:15], s[6:7], s9, v3, v[6:7]
	v_add_u32_e32 v11, 0x13b, v3
	v_mov_b32_e32 v5, v14
	v_mad_u64_u32 v[14:15], s[6:7], s8, v11, 0
	v_mov_b32_e32 v6, v15
	v_mad_u64_u32 v[32:33], s[6:7], s9, v11, v[6:7]
	v_add_u32_e32 v11, 0x276, v3
	v_mov_b32_e32 v15, v32
	;; [unrolled: 5-line block ×4, first 2 shown]
	v_mad_u64_u32 v[36:37], s[6:7], s8, v3, 0
	v_mov_b32_e32 v6, v37
	v_mad_u64_u32 v[38:39], s[6:7], s9, v3, v[6:7]
	v_mov_b32_e32 v37, v38
	v_mov_b32_e32 v6, v13
	v_lshl_add_u64 v[4:5], v[4:5], 3, v[8:9]
	v_lshl_add_u64 v[14:15], v[14:15], 3, v[8:9]
	;; [unrolled: 1-line block ×5, first 2 shown]
	s_waitcnt vmcnt(5)
	v_pk_mul_f32 v[26:27], v[28:29], v[22:23] op_sel_hi:[1,0]
	s_nop 0
	v_pk_fma_f32 v[36:37], v[6:7], v[28:29], v[26:27] op_sel:[0,0,1] op_sel_hi:[1,1,0] neg_lo:[0,0,1] neg_hi:[0,0,1]
	v_pk_fma_f32 v[12:13], v[12:13], v[28:29], v[26:27] op_sel:[0,0,1] op_sel_hi:[0,1,0]
	v_mov_b32_e32 v37, v13
	v_pk_mul_f32 v[12:13], v[30:31], v[24:25] op_sel_hi:[1,0]
	v_mov_b32_e32 v6, v7
	v_pk_fma_f32 v[24:25], v[2:3], v[30:31], v[12:13] op_sel:[0,0,1] op_sel_hi:[1,1,0] neg_lo:[0,0,1] neg_hi:[0,0,1]
	v_pk_fma_f32 v[2:3], v[2:3], v[30:31], v[12:13] op_sel:[0,0,1] op_sel_hi:[0,1,0]
	v_mov_b32_e32 v25, v3
	v_pk_mul_f32 v[2:3], v[18:19], v[20:21] op_sel_hi:[1,0]
	v_pk_add_f32 v[26:27], v[0:1], v[36:37]
	v_pk_fma_f32 v[12:13], v[10:11], v[18:19], v[2:3] op_sel:[0,0,1] op_sel_hi:[1,1,0] neg_lo:[0,0,1] neg_hi:[0,0,1]
	v_pk_fma_f32 v[2:3], v[10:11], v[18:19], v[2:3] op_sel:[0,0,1] op_sel_hi:[0,1,0]
	v_mov_b32_e32 v10, v23
	v_mov_b32_e32 v2, v7
	v_pk_mul_f32 v[10:11], v[16:17], v[10:11] op_sel_hi:[1,0]
	v_mov_b32_e32 v13, v3
	v_pk_fma_f32 v[2:3], v[2:3], v[16:17], v[10:11] op_sel:[0,0,1] op_sel_hi:[1,1,0] neg_lo:[0,0,1] neg_hi:[0,0,1]
	v_pk_fma_f32 v[6:7], v[6:7], v[16:17], v[10:11] op_sel:[0,0,1] op_sel_hi:[0,1,0]
	v_mov_b32_e32 v3, v7
	v_pk_add_f32 v[16:17], v[24:25], v[2:3]
	v_pk_add_f32 v[6:7], v[36:37], v[12:13] neg_lo:[0,1] neg_hi:[0,1]
	v_pk_fma_f32 v[16:17], v[16:17], 0.5, v[0:1] op_sel_hi:[1,0,1] neg_lo:[1,0,0] neg_hi:[1,0,0]
	v_pk_add_f32 v[18:19], v[36:37], v[24:25] neg_lo:[0,1] neg_hi:[0,1]
	v_pk_add_f32 v[20:21], v[12:13], v[2:3] neg_lo:[0,1] neg_hi:[0,1]
	;; [unrolled: 1-line block ×3, first 2 shown]
	v_pk_add_f32 v[18:19], v[18:19], v[20:21]
	v_pk_fma_f32 v[20:21], v[6:7], s[2:3], v[16:17] op_sel:[1,0,0] op_sel_hi:[0,0,1] neg_lo:[1,0,0] neg_hi:[1,0,0]
	v_pk_fma_f32 v[16:17], v[6:7], s[2:3], v[16:17] op_sel:[1,0,0] op_sel_hi:[0,0,1]
	v_pk_add_f32 v[26:27], v[24:25], v[26:27]
	v_pk_fma_f32 v[16:17], v[10:11], s[4:5], v[16:17] op_sel:[1,0,0] op_sel_hi:[0,0,1]
	v_pk_fma_f32 v[20:21], v[10:11], s[4:5], v[20:21] op_sel:[1,0,0] op_sel_hi:[0,0,1] neg_lo:[1,0,0] neg_hi:[1,0,0]
	v_pk_add_f32 v[26:27], v[26:27], v[2:3]
	v_mov_b32_e32 v23, v17
	v_pk_add_f32 v[26:27], v[26:27], v[12:13]
	v_mov_b32_e32 v17, v21
	global_store_dwordx2 v[4:5], v[26:27], off
	v_pk_fma_f32 v[4:5], v[18:19], s[0:1], v[16:17] op_sel_hi:[1,0,1]
	global_store_dwordx2 v[14:15], v[4:5], off
	v_pk_add_f32 v[4:5], v[24:25], v[36:37] neg_lo:[0,1] neg_hi:[0,1]
	v_pk_add_f32 v[2:3], v[2:3], v[12:13] neg_lo:[0,1] neg_hi:[0,1]
	v_mov_b32_e32 v22, v20
	v_pk_add_f32 v[2:3], v[4:5], v[2:3]
	v_pk_add_f32 v[4:5], v[36:37], v[12:13]
	v_pk_fma_f32 v[22:23], v[18:19], s[0:1], v[22:23] op_sel_hi:[1,0,1]
	v_pk_fma_f32 v[0:1], v[4:5], 0.5, v[0:1] op_sel_hi:[1,0,1] neg_lo:[1,0,0] neg_hi:[1,0,0]
	s_nop 0
	v_pk_fma_f32 v[4:5], v[10:11], s[2:3], v[0:1] op_sel:[1,0,0] op_sel_hi:[0,0,1]
	v_pk_fma_f32 v[0:1], v[10:11], s[2:3], v[0:1] op_sel:[1,0,0] op_sel_hi:[0,0,1] neg_lo:[1,0,0] neg_hi:[1,0,0]
	v_pk_fma_f32 v[0:1], v[6:7], s[4:5], v[0:1] op_sel:[1,0,0] op_sel_hi:[0,0,1]
	v_pk_fma_f32 v[4:5], v[6:7], s[4:5], v[4:5] op_sel:[1,0,0] op_sel_hi:[0,0,1] neg_lo:[1,0,0] neg_hi:[1,0,0]
	v_mov_b32_e32 v7, v1
	v_mov_b32_e32 v1, v5
	;; [unrolled: 1-line block ×3, first 2 shown]
	v_pk_fma_f32 v[0:1], v[2:3], s[0:1], v[0:1] op_sel_hi:[1,0,1]
	v_pk_fma_f32 v[6:7], v[2:3], s[0:1], v[6:7] op_sel_hi:[1,0,1]
	global_store_dwordx2 v[32:33], v[0:1], off
	global_store_dwordx2 v[34:35], v[6:7], off
	;; [unrolled: 1-line block ×3, first 2 shown]
.LBB0_37:
	s_endpgm
	.section	.rodata,"a",@progbits
	.p2align	6, 0x0
	.amdhsa_kernel fft_rtc_fwd_len1575_factors_3_3_5_7_5_wgs_63_tpt_63_halfLds_sp_ip_CI_sbrr_dirReg
		.amdhsa_group_segment_fixed_size 0
		.amdhsa_private_segment_fixed_size 0
		.amdhsa_kernarg_size 88
		.amdhsa_user_sgpr_count 2
		.amdhsa_user_sgpr_dispatch_ptr 0
		.amdhsa_user_sgpr_queue_ptr 0
		.amdhsa_user_sgpr_kernarg_segment_ptr 1
		.amdhsa_user_sgpr_dispatch_id 0
		.amdhsa_user_sgpr_kernarg_preload_length 0
		.amdhsa_user_sgpr_kernarg_preload_offset 0
		.amdhsa_user_sgpr_private_segment_size 0
		.amdhsa_uses_dynamic_stack 0
		.amdhsa_enable_private_segment 0
		.amdhsa_system_sgpr_workgroup_id_x 1
		.amdhsa_system_sgpr_workgroup_id_y 0
		.amdhsa_system_sgpr_workgroup_id_z 0
		.amdhsa_system_sgpr_workgroup_info 0
		.amdhsa_system_vgpr_workitem_id 0
		.amdhsa_next_free_vgpr 139
		.amdhsa_next_free_sgpr 24
		.amdhsa_accum_offset 140
		.amdhsa_reserve_vcc 1
		.amdhsa_float_round_mode_32 0
		.amdhsa_float_round_mode_16_64 0
		.amdhsa_float_denorm_mode_32 3
		.amdhsa_float_denorm_mode_16_64 3
		.amdhsa_dx10_clamp 1
		.amdhsa_ieee_mode 1
		.amdhsa_fp16_overflow 0
		.amdhsa_tg_split 0
		.amdhsa_exception_fp_ieee_invalid_op 0
		.amdhsa_exception_fp_denorm_src 0
		.amdhsa_exception_fp_ieee_div_zero 0
		.amdhsa_exception_fp_ieee_overflow 0
		.amdhsa_exception_fp_ieee_underflow 0
		.amdhsa_exception_fp_ieee_inexact 0
		.amdhsa_exception_int_div_zero 0
	.end_amdhsa_kernel
	.text
.Lfunc_end0:
	.size	fft_rtc_fwd_len1575_factors_3_3_5_7_5_wgs_63_tpt_63_halfLds_sp_ip_CI_sbrr_dirReg, .Lfunc_end0-fft_rtc_fwd_len1575_factors_3_3_5_7_5_wgs_63_tpt_63_halfLds_sp_ip_CI_sbrr_dirReg
                                        ; -- End function
	.section	.AMDGPU.csdata,"",@progbits
; Kernel info:
; codeLenInByte = 16936
; NumSgprs: 30
; NumVgprs: 139
; NumAgprs: 0
; TotalNumVgprs: 139
; ScratchSize: 0
; MemoryBound: 0
; FloatMode: 240
; IeeeMode: 1
; LDSByteSize: 0 bytes/workgroup (compile time only)
; SGPRBlocks: 3
; VGPRBlocks: 17
; NumSGPRsForWavesPerEU: 30
; NumVGPRsForWavesPerEU: 139
; AccumOffset: 140
; Occupancy: 3
; WaveLimiterHint : 1
; COMPUTE_PGM_RSRC2:SCRATCH_EN: 0
; COMPUTE_PGM_RSRC2:USER_SGPR: 2
; COMPUTE_PGM_RSRC2:TRAP_HANDLER: 0
; COMPUTE_PGM_RSRC2:TGID_X_EN: 1
; COMPUTE_PGM_RSRC2:TGID_Y_EN: 0
; COMPUTE_PGM_RSRC2:TGID_Z_EN: 0
; COMPUTE_PGM_RSRC2:TIDIG_COMP_CNT: 0
; COMPUTE_PGM_RSRC3_GFX90A:ACCUM_OFFSET: 34
; COMPUTE_PGM_RSRC3_GFX90A:TG_SPLIT: 0
	.text
	.p2alignl 6, 3212836864
	.fill 256, 4, 3212836864
	.type	__hip_cuid_7759cd984c958b60,@object ; @__hip_cuid_7759cd984c958b60
	.section	.bss,"aw",@nobits
	.globl	__hip_cuid_7759cd984c958b60
__hip_cuid_7759cd984c958b60:
	.byte	0                               ; 0x0
	.size	__hip_cuid_7759cd984c958b60, 1

	.ident	"AMD clang version 19.0.0git (https://github.com/RadeonOpenCompute/llvm-project roc-6.4.0 25133 c7fe45cf4b819c5991fe208aaa96edf142730f1d)"
	.section	".note.GNU-stack","",@progbits
	.addrsig
	.addrsig_sym __hip_cuid_7759cd984c958b60
	.amdgpu_metadata
---
amdhsa.kernels:
  - .agpr_count:     0
    .args:
      - .actual_access:  read_only
        .address_space:  global
        .offset:         0
        .size:           8
        .value_kind:     global_buffer
      - .offset:         8
        .size:           8
        .value_kind:     by_value
      - .actual_access:  read_only
        .address_space:  global
        .offset:         16
        .size:           8
        .value_kind:     global_buffer
      - .actual_access:  read_only
        .address_space:  global
        .offset:         24
        .size:           8
        .value_kind:     global_buffer
      - .offset:         32
        .size:           8
        .value_kind:     by_value
      - .actual_access:  read_only
        .address_space:  global
        .offset:         40
        .size:           8
        .value_kind:     global_buffer
      - .actual_access:  read_only
        .address_space:  global
        .offset:         48
        .size:           8
        .value_kind:     global_buffer
      - .offset:         56
        .size:           4
        .value_kind:     by_value
      - .actual_access:  read_only
        .address_space:  global
        .offset:         64
        .size:           8
        .value_kind:     global_buffer
      - .actual_access:  read_only
        .address_space:  global
        .offset:         72
        .size:           8
        .value_kind:     global_buffer
      - .address_space:  global
        .offset:         80
        .size:           8
        .value_kind:     global_buffer
    .group_segment_fixed_size: 0
    .kernarg_segment_align: 8
    .kernarg_segment_size: 88
    .language:       OpenCL C
    .language_version:
      - 2
      - 0
    .max_flat_workgroup_size: 63
    .name:           fft_rtc_fwd_len1575_factors_3_3_5_7_5_wgs_63_tpt_63_halfLds_sp_ip_CI_sbrr_dirReg
    .private_segment_fixed_size: 0
    .sgpr_count:     30
    .sgpr_spill_count: 0
    .symbol:         fft_rtc_fwd_len1575_factors_3_3_5_7_5_wgs_63_tpt_63_halfLds_sp_ip_CI_sbrr_dirReg.kd
    .uniform_work_group_size: 1
    .uses_dynamic_stack: false
    .vgpr_count:     139
    .vgpr_spill_count: 0
    .wavefront_size: 64
amdhsa.target:   amdgcn-amd-amdhsa--gfx950
amdhsa.version:
  - 1
  - 2
...

	.end_amdgpu_metadata
